;; amdgpu-corpus repo=ROCm/rocFFT kind=compiled arch=gfx1030 opt=O3
	.text
	.amdgcn_target "amdgcn-amd-amdhsa--gfx1030"
	.amdhsa_code_object_version 6
	.protected	fft_rtc_fwd_len1960_factors_4_7_2_7_5_wgs_56_tpt_56_halfLds_dp_op_CI_CI_unitstride_sbrr_R2C_dirReg ; -- Begin function fft_rtc_fwd_len1960_factors_4_7_2_7_5_wgs_56_tpt_56_halfLds_dp_op_CI_CI_unitstride_sbrr_R2C_dirReg
	.globl	fft_rtc_fwd_len1960_factors_4_7_2_7_5_wgs_56_tpt_56_halfLds_dp_op_CI_CI_unitstride_sbrr_R2C_dirReg
	.p2align	8
	.type	fft_rtc_fwd_len1960_factors_4_7_2_7_5_wgs_56_tpt_56_halfLds_dp_op_CI_CI_unitstride_sbrr_R2C_dirReg,@function
fft_rtc_fwd_len1960_factors_4_7_2_7_5_wgs_56_tpt_56_halfLds_dp_op_CI_CI_unitstride_sbrr_R2C_dirReg: ; @fft_rtc_fwd_len1960_factors_4_7_2_7_5_wgs_56_tpt_56_halfLds_dp_op_CI_CI_unitstride_sbrr_R2C_dirReg
; %bb.0:
	s_clause 0x2
	s_load_dwordx4 s[12:15], s[4:5], 0x0
	s_load_dwordx4 s[8:11], s[4:5], 0x58
	;; [unrolled: 1-line block ×3, first 2 shown]
	v_mul_u32_u24_e32 v1, 0x493, v0
	v_mov_b32_e32 v3, 0
	s_mov_b64 s[30:31], s[2:3]
	s_mov_b64 s[28:29], s[0:1]
	v_add_nc_u32_sdwa v5, s6, v1 dst_sel:DWORD dst_unused:UNUSED_PAD src0_sel:DWORD src1_sel:WORD_1
	v_mov_b32_e32 v1, 0
	v_mov_b32_e32 v6, v3
	;; [unrolled: 1-line block ×3, first 2 shown]
	s_add_u32 s28, s28, s7
	s_addc_u32 s29, s29, 0
	s_waitcnt lgkmcnt(0)
	v_cmp_lt_u64_e64 s0, s[14:15], 2
	s_and_b32 vcc_lo, exec_lo, s0
	s_cbranch_vccnz .LBB0_8
; %bb.1:
	s_load_dwordx2 s[0:1], s[4:5], 0x10
	v_mov_b32_e32 v1, 0
	v_mov_b32_e32 v2, 0
	s_add_u32 s2, s18, 8
	s_addc_u32 s3, s19, 0
	s_add_u32 s6, s16, 8
	s_addc_u32 s7, s17, 0
	v_mov_b32_e32 v151, v2
	v_mov_b32_e32 v150, v1
	s_mov_b64 s[22:23], 1
	s_waitcnt lgkmcnt(0)
	s_add_u32 s20, s0, 8
	s_addc_u32 s21, s1, 0
.LBB0_2:                                ; =>This Inner Loop Header: Depth=1
	s_load_dwordx2 s[24:25], s[20:21], 0x0
                                        ; implicit-def: $vgpr152_vgpr153
	s_mov_b32 s0, exec_lo
	s_waitcnt lgkmcnt(0)
	v_or_b32_e32 v4, s25, v6
	v_cmpx_ne_u64_e32 0, v[3:4]
	s_xor_b32 s1, exec_lo, s0
	s_cbranch_execz .LBB0_4
; %bb.3:                                ;   in Loop: Header=BB0_2 Depth=1
	v_cvt_f32_u32_e32 v4, s24
	v_cvt_f32_u32_e32 v7, s25
	s_sub_u32 s0, 0, s24
	s_subb_u32 s26, 0, s25
	v_fmac_f32_e32 v4, 0x4f800000, v7
	v_rcp_f32_e32 v4, v4
	v_mul_f32_e32 v4, 0x5f7ffffc, v4
	v_mul_f32_e32 v7, 0x2f800000, v4
	v_trunc_f32_e32 v7, v7
	v_fmac_f32_e32 v4, 0xcf800000, v7
	v_cvt_u32_f32_e32 v7, v7
	v_cvt_u32_f32_e32 v4, v4
	v_mul_lo_u32 v8, s0, v7
	v_mul_hi_u32 v9, s0, v4
	v_mul_lo_u32 v10, s26, v4
	v_add_nc_u32_e32 v8, v9, v8
	v_mul_lo_u32 v9, s0, v4
	v_add_nc_u32_e32 v8, v8, v10
	v_mul_hi_u32 v10, v4, v9
	v_mul_lo_u32 v11, v4, v8
	v_mul_hi_u32 v12, v4, v8
	v_mul_hi_u32 v13, v7, v9
	v_mul_lo_u32 v9, v7, v9
	v_mul_hi_u32 v14, v7, v8
	v_mul_lo_u32 v8, v7, v8
	v_add_co_u32 v10, vcc_lo, v10, v11
	v_add_co_ci_u32_e32 v11, vcc_lo, 0, v12, vcc_lo
	v_add_co_u32 v9, vcc_lo, v10, v9
	v_add_co_ci_u32_e32 v9, vcc_lo, v11, v13, vcc_lo
	v_add_co_ci_u32_e32 v10, vcc_lo, 0, v14, vcc_lo
	v_add_co_u32 v8, vcc_lo, v9, v8
	v_add_co_ci_u32_e32 v9, vcc_lo, 0, v10, vcc_lo
	v_add_co_u32 v4, vcc_lo, v4, v8
	v_add_co_ci_u32_e32 v7, vcc_lo, v7, v9, vcc_lo
	v_mul_hi_u32 v8, s0, v4
	v_mul_lo_u32 v10, s26, v4
	v_mul_lo_u32 v9, s0, v7
	v_add_nc_u32_e32 v8, v8, v9
	v_mul_lo_u32 v9, s0, v4
	v_add_nc_u32_e32 v8, v8, v10
	v_mul_hi_u32 v10, v4, v9
	v_mul_lo_u32 v11, v4, v8
	v_mul_hi_u32 v12, v4, v8
	v_mul_hi_u32 v13, v7, v9
	v_mul_lo_u32 v9, v7, v9
	v_mul_hi_u32 v14, v7, v8
	v_mul_lo_u32 v8, v7, v8
	v_add_co_u32 v10, vcc_lo, v10, v11
	v_add_co_ci_u32_e32 v11, vcc_lo, 0, v12, vcc_lo
	v_add_co_u32 v9, vcc_lo, v10, v9
	v_add_co_ci_u32_e32 v9, vcc_lo, v11, v13, vcc_lo
	v_add_co_ci_u32_e32 v10, vcc_lo, 0, v14, vcc_lo
	v_add_co_u32 v8, vcc_lo, v9, v8
	v_add_co_ci_u32_e32 v9, vcc_lo, 0, v10, vcc_lo
	v_add_co_u32 v4, vcc_lo, v4, v8
	v_add_co_ci_u32_e32 v11, vcc_lo, v7, v9, vcc_lo
	v_mul_hi_u32 v13, v5, v4
	v_mad_u64_u32 v[9:10], null, v6, v4, 0
	v_mad_u64_u32 v[7:8], null, v5, v11, 0
	;; [unrolled: 1-line block ×3, first 2 shown]
	v_add_co_u32 v4, vcc_lo, v13, v7
	v_add_co_ci_u32_e32 v7, vcc_lo, 0, v8, vcc_lo
	v_add_co_u32 v4, vcc_lo, v4, v9
	v_add_co_ci_u32_e32 v4, vcc_lo, v7, v10, vcc_lo
	v_add_co_ci_u32_e32 v7, vcc_lo, 0, v12, vcc_lo
	v_add_co_u32 v4, vcc_lo, v4, v11
	v_add_co_ci_u32_e32 v9, vcc_lo, 0, v7, vcc_lo
	v_mul_lo_u32 v10, s25, v4
	v_mad_u64_u32 v[7:8], null, s24, v4, 0
	v_mul_lo_u32 v11, s24, v9
	v_sub_co_u32 v7, vcc_lo, v5, v7
	v_add3_u32 v8, v8, v11, v10
	v_sub_nc_u32_e32 v10, v6, v8
	v_subrev_co_ci_u32_e64 v10, s0, s25, v10, vcc_lo
	v_add_co_u32 v11, s0, v4, 2
	v_add_co_ci_u32_e64 v12, s0, 0, v9, s0
	v_sub_co_u32 v13, s0, v7, s24
	v_sub_co_ci_u32_e32 v8, vcc_lo, v6, v8, vcc_lo
	v_subrev_co_ci_u32_e64 v10, s0, 0, v10, s0
	v_cmp_le_u32_e32 vcc_lo, s24, v13
	v_cmp_eq_u32_e64 s0, s25, v8
	v_cndmask_b32_e64 v13, 0, -1, vcc_lo
	v_cmp_le_u32_e32 vcc_lo, s25, v10
	v_cndmask_b32_e64 v14, 0, -1, vcc_lo
	v_cmp_le_u32_e32 vcc_lo, s24, v7
	;; [unrolled: 2-line block ×3, first 2 shown]
	v_cndmask_b32_e64 v15, 0, -1, vcc_lo
	v_cmp_eq_u32_e32 vcc_lo, s25, v10
	v_cndmask_b32_e64 v7, v15, v7, s0
	v_cndmask_b32_e32 v10, v14, v13, vcc_lo
	v_add_co_u32 v13, vcc_lo, v4, 1
	v_add_co_ci_u32_e32 v14, vcc_lo, 0, v9, vcc_lo
	v_cmp_ne_u32_e32 vcc_lo, 0, v10
	v_cndmask_b32_e32 v8, v14, v12, vcc_lo
	v_cndmask_b32_e32 v10, v13, v11, vcc_lo
	v_cmp_ne_u32_e32 vcc_lo, 0, v7
	v_cndmask_b32_e32 v153, v9, v8, vcc_lo
	v_cndmask_b32_e32 v152, v4, v10, vcc_lo
.LBB0_4:                                ;   in Loop: Header=BB0_2 Depth=1
	s_andn2_saveexec_b32 s0, s1
	s_cbranch_execz .LBB0_6
; %bb.5:                                ;   in Loop: Header=BB0_2 Depth=1
	v_cvt_f32_u32_e32 v4, s24
	s_sub_i32 s1, 0, s24
	v_mov_b32_e32 v153, v3
	v_rcp_iflag_f32_e32 v4, v4
	v_mul_f32_e32 v4, 0x4f7ffffe, v4
	v_cvt_u32_f32_e32 v4, v4
	v_mul_lo_u32 v7, s1, v4
	v_mul_hi_u32 v7, v4, v7
	v_add_nc_u32_e32 v4, v4, v7
	v_mul_hi_u32 v4, v5, v4
	v_mul_lo_u32 v7, v4, s24
	v_add_nc_u32_e32 v8, 1, v4
	v_sub_nc_u32_e32 v7, v5, v7
	v_subrev_nc_u32_e32 v9, s24, v7
	v_cmp_le_u32_e32 vcc_lo, s24, v7
	v_cndmask_b32_e32 v7, v7, v9, vcc_lo
	v_cndmask_b32_e32 v4, v4, v8, vcc_lo
	v_cmp_le_u32_e32 vcc_lo, s24, v7
	v_add_nc_u32_e32 v8, 1, v4
	v_cndmask_b32_e32 v152, v4, v8, vcc_lo
.LBB0_6:                                ;   in Loop: Header=BB0_2 Depth=1
	s_or_b32 exec_lo, exec_lo, s0
	v_mul_lo_u32 v4, v153, s24
	v_mul_lo_u32 v9, v152, s25
	s_load_dwordx2 s[0:1], s[6:7], 0x0
	v_mad_u64_u32 v[7:8], null, v152, s24, 0
	s_load_dwordx2 s[24:25], s[2:3], 0x0
	s_add_u32 s22, s22, 1
	s_addc_u32 s23, s23, 0
	s_add_u32 s2, s2, 8
	s_addc_u32 s3, s3, 0
	s_add_u32 s6, s6, 8
	v_add3_u32 v4, v8, v9, v4
	v_sub_co_u32 v5, vcc_lo, v5, v7
	s_addc_u32 s7, s7, 0
	s_add_u32 s20, s20, 8
	v_sub_co_ci_u32_e32 v4, vcc_lo, v6, v4, vcc_lo
	s_addc_u32 s21, s21, 0
	s_waitcnt lgkmcnt(0)
	v_mul_lo_u32 v6, s0, v4
	v_mul_lo_u32 v7, s1, v5
	v_mad_u64_u32 v[1:2], null, s0, v5, v[1:2]
	v_mul_lo_u32 v4, s24, v4
	v_mul_lo_u32 v8, s25, v5
	v_mad_u64_u32 v[150:151], null, s24, v5, v[150:151]
	v_cmp_ge_u64_e64 s0, s[22:23], s[14:15]
	v_add3_u32 v2, v7, v2, v6
	v_add3_u32 v151, v8, v151, v4
	s_and_b32 vcc_lo, exec_lo, s0
	s_cbranch_vccnz .LBB0_9
; %bb.7:                                ;   in Loop: Header=BB0_2 Depth=1
	v_mov_b32_e32 v5, v152
	v_mov_b32_e32 v6, v153
	s_branch .LBB0_2
.LBB0_8:
	v_mov_b32_e32 v151, v2
	v_mov_b32_e32 v153, v6
	;; [unrolled: 1-line block ×4, first 2 shown]
.LBB0_9:
	s_load_dwordx2 s[0:1], s[4:5], 0x28
	v_mul_hi_u32 v3, 0x4924925, v0
	s_lshl_b64 s[4:5], s[14:15], 3
                                        ; implicit-def: $vgpr148
                                        ; implicit-def: $vgpr154
                                        ; implicit-def: $vgpr208
                                        ; implicit-def: $vgpr161
                                        ; implicit-def: $vgpr160
                                        ; implicit-def: $vgpr159
                                        ; implicit-def: $vgpr158
                                        ; implicit-def: $vgpr171
                                        ; implicit-def: $vgpr157
	s_add_u32 s2, s18, s4
	s_addc_u32 s3, s19, s5
	s_waitcnt lgkmcnt(0)
	v_cmp_gt_u64_e32 vcc_lo, s[0:1], v[152:153]
	v_cmp_le_u64_e64 s0, s[0:1], v[152:153]
	s_and_saveexec_b32 s1, s0
	s_xor_b32 s0, exec_lo, s1
; %bb.10:
	v_mul_u32_u24_e32 v1, 56, v3
                                        ; implicit-def: $vgpr3
	v_sub_nc_u32_e32 v148, v0, v1
                                        ; implicit-def: $vgpr0
                                        ; implicit-def: $vgpr1_vgpr2
	v_add_nc_u32_e32 v154, 56, v148
	v_add_nc_u32_e32 v208, 0x70, v148
	v_add_nc_u32_e32 v161, 0xa8, v148
	v_add_nc_u32_e32 v160, 0xe0, v148
	v_add_nc_u32_e32 v159, 0x118, v148
	v_add_nc_u32_e32 v158, 0x150, v148
	v_add_nc_u32_e32 v171, 0x188, v148
	v_or_b32_e32 v157, 0x1c0, v148
; %bb.11:
	s_andn2_saveexec_b32 s1, s0
	s_cbranch_execz .LBB0_13
; %bb.12:
	s_add_u32 s4, s16, s4
	s_addc_u32 s5, s17, s5
	v_mul_u32_u24_e32 v3, 56, v3
	s_load_dwordx2 s[4:5], s[4:5], 0x0
	v_sub_nc_u32_e32 v148, v0, v3
	v_lshlrev_b64 v[0:1], 4, v[1:2]
	v_or_b32_e32 v157, 0x1c0, v148
	v_lshlrev_b32_e32 v140, 4, v148
	v_add_nc_u32_e32 v154, 56, v148
	v_add_nc_u32_e32 v208, 0x70, v148
	;; [unrolled: 1-line block ×3, first 2 shown]
	v_lshlrev_b32_e32 v2, 4, v157
	v_add_nc_u32_e32 v160, 0xe0, v148
	v_add_nc_u32_e32 v159, 0x118, v148
	;; [unrolled: 1-line block ×4, first 2 shown]
	s_waitcnt lgkmcnt(0)
	v_mul_lo_u32 v6, s5, v152
	v_mul_lo_u32 v7, s4, v153
	v_mad_u64_u32 v[4:5], null, s4, v152, 0
	v_add3_u32 v5, v5, v7, v6
	v_or_b32_e32 v6, 0x5400, v140
	v_lshlrev_b64 v[3:4], 4, v[4:5]
	v_or_b32_e32 v5, 0x3800, v140
	v_add_co_u32 v3, s0, s8, v3
	v_add_co_ci_u32_e64 v4, s0, s9, v4, s0
	v_add_co_u32 v0, s0, v3, v0
	v_add_co_ci_u32_e64 v1, s0, v4, v1, s0
	v_or_b32_e32 v3, 0x7000, v140
	v_add_co_u32 v108, s0, v0, v140
	v_add_co_ci_u32_e64 v109, s0, 0, v1, s0
	v_add_co_u32 v36, s0, v0, v2
	v_add_co_ci_u32_e64 v37, s0, 0, v1, s0
	;; [unrolled: 2-line block ×19, first 2 shown]
	s_clause 0x22
	global_load_dwordx4 v[0:3], v[108:109], off
	global_load_dwordx4 v[4:7], v[108:109], off offset:896
	global_load_dwordx4 v[8:11], v[8:9], off
	global_load_dwordx4 v[12:15], v[108:109], off offset:1792
	global_load_dwordx4 v[16:19], v[20:21], off offset:640
	global_load_dwordx4 v[20:23], v[20:21], off offset:1536
	global_load_dwordx4 v[24:27], v[28:29], off offset:384
	global_load_dwordx4 v[28:31], v[28:29], off offset:1280
	global_load_dwordx4 v[32:35], v[40:41], off offset:128
	global_load_dwordx4 v[36:39], v[36:37], off
	global_load_dwordx4 v[40:43], v[40:41], off offset:1920
	global_load_dwordx4 v[44:47], v[44:45], off
	global_load_dwordx4 v[48:51], v[84:85], off offset:896
	;; [unrolled: 2-line block ×3, first 2 shown]
	global_load_dwordx4 v[60:63], v[64:65], off offset:768
	global_load_dwordx4 v[64:67], v[64:65], off offset:1664
	;; [unrolled: 1-line block ×20, first 2 shown]
	v_add_nc_u32_e32 v140, 0, v140
	s_waitcnt vmcnt(34)
	ds_write_b128 v140, v[0:3]
	s_waitcnt vmcnt(33)
	ds_write_b128 v140, v[4:7] offset:896
	s_waitcnt vmcnt(31)
	ds_write_b128 v140, v[12:15] offset:1792
	;; [unrolled: 2-line block ×5, first 2 shown]
	ds_write_b128 v140, v[8:11] offset:28672
	ds_write_b128 v140, v[16:19] offset:2688
	;; [unrolled: 1-line block ×7, first 2 shown]
	s_waitcnt vmcnt(19)
	ds_write_b128 v140, v[60:63] offset:8960
	s_waitcnt vmcnt(18)
	ds_write_b128 v140, v[64:67] offset:9856
	;; [unrolled: 2-line block ×6, first 2 shown]
	ds_write_b128 v140, v[48:51] offset:15232
	s_waitcnt vmcnt(13)
	ds_write_b128 v140, v[84:87] offset:16128
	s_waitcnt vmcnt(12)
	;; [unrolled: 2-line block ×6, first 2 shown]
	ds_write_b128 v140, v[104:107] offset:20608
	ds_write_b128 v140, v[56:59] offset:22400
	s_waitcnt vmcnt(7)
	ds_write_b128 v140, v[108:111] offset:23296
	s_waitcnt vmcnt(6)
	ds_write_b128 v140, v[112:115] offset:24192
	s_waitcnt vmcnt(5)
	ds_write_b128 v140, v[116:119] offset:25088
	s_waitcnt vmcnt(4)
	ds_write_b128 v140, v[120:123] offset:25984
	s_waitcnt vmcnt(3)
	ds_write_b128 v140, v[124:127] offset:26880
	s_waitcnt vmcnt(2)
	ds_write_b128 v140, v[128:131] offset:27776
	s_waitcnt vmcnt(1)
	ds_write_b128 v140, v[132:135] offset:29568
	s_waitcnt vmcnt(0)
	ds_write_b128 v140, v[136:139] offset:30464
.LBB0_13:
	s_or_b32 exec_lo, exec_lo, s1
	v_lshl_add_u32 v209, v148, 4, 0
	s_load_dwordx2 s[2:3], s[2:3], 0x0
	s_waitcnt lgkmcnt(0)
	s_barrier
	buffer_gl0_inv
	ds_read_b128 v[0:3], v209 offset:7840
	ds_read_b128 v[12:15], v209 offset:23520
	;; [unrolled: 1-line block ×3, first 2 shown]
	ds_read_b128 v[4:7], v209
	ds_read_b128 v[20:23], v209 offset:8736
	ds_read_b128 v[24:27], v209 offset:24416
	;; [unrolled: 1-line block ×8, first 2 shown]
	v_lshl_add_u32 v149, v148, 6, 0
	v_lshl_add_u32 v155, v154, 6, 0
	v_lshl_add_u32 v156, v208, 6, 0
	s_mov_b32 s1, exec_lo
	s_waitcnt lgkmcnt(10)
	v_add_f64 v[100:101], v[0:1], -v[12:13]
	v_add_f64 v[102:103], v[2:3], -v[14:15]
	s_waitcnt lgkmcnt(8)
	v_add_f64 v[120:121], v[4:5], -v[8:9]
	v_add_f64 v[122:123], v[6:7], -v[10:11]
	;; [unrolled: 3-line block ×4, first 2 shown]
	ds_read_b128 v[8:11], v209 offset:1792
	ds_read_b128 v[12:15], v209 offset:2688
	;; [unrolled: 1-line block ×12, first 2 shown]
	s_waitcnt lgkmcnt(12)
	v_add_f64 v[136:137], v[40:41], -v[44:45]
	v_add_f64 v[138:139], v[42:43], -v[46:47]
	s_waitcnt lgkmcnt(9)
	v_add_f64 v[140:141], v[8:9], -v[24:25]
	v_add_f64 v[142:143], v[10:11], -v[26:27]
	s_waitcnt lgkmcnt(8)
	v_add_f64 v[144:145], v[12:13], -v[32:33]
	v_fma_f64 v[108:109], v[0:1], 2.0, -v[100:101]
	v_fma_f64 v[110:111], v[2:3], 2.0, -v[102:103]
	;; [unrolled: 1-line block ×8, first 2 shown]
	v_add_f64 v[44:45], v[120:121], -v[102:103]
	v_add_f64 v[46:47], v[122:123], v[100:101]
	v_add_f64 v[100:101], v[124:125], -v[106:107]
	v_add_f64 v[102:103], v[126:127], v[104:105]
	s_waitcnt lgkmcnt(5)
	v_add_f64 v[163:164], v[48:49], -v[56:57]
	v_add_f64 v[146:147], v[14:15], -v[34:35]
	;; [unrolled: 1-line block ×3, first 2 shown]
	v_fma_f64 v[167:168], v[40:41], 2.0, -v[136:137]
	v_fma_f64 v[169:170], v[42:43], 2.0, -v[138:139]
	ds_read_b128 v[0:3], v209 offset:12320
	ds_read_b128 v[20:23], v209 offset:13216
	;; [unrolled: 1-line block ×10, first 2 shown]
	v_add_f64 v[32:33], v[140:141], -v[138:139]
	v_add_f64 v[34:35], v[142:143], v[136:137]
	v_fma_f64 v[136:137], v[8:9], 2.0, -v[140:141]
	v_fma_f64 v[138:139], v[10:11], 2.0, -v[142:143]
	s_waitcnt lgkmcnt(11)
	v_add_f64 v[72:73], v[64:65], -v[72:73]
	v_add_f64 v[104:105], v[128:129], -v[108:109]
	;; [unrolled: 1-line block ×7, first 2 shown]
	v_fma_f64 v[8:9], v[120:121], 2.0, -v[44:45]
	v_fma_f64 v[10:11], v[122:123], 2.0, -v[46:47]
	;; [unrolled: 1-line block ×4, first 2 shown]
	ds_read_b128 v[112:115], v209 offset:29792
	ds_read_b128 v[116:119], v209 offset:30688
	v_add_f64 v[62:63], v[54:55], -v[62:63]
	v_fma_f64 v[124:125], v[12:13], 2.0, -v[144:145]
	v_fma_f64 v[48:49], v[48:49], 2.0, -v[163:164]
	s_waitcnt lgkmcnt(0)
	s_barrier
	buffer_gl0_inv
	v_add_f64 v[76:77], v[68:69], -v[76:77]
	v_fma_f64 v[126:127], v[14:15], 2.0, -v[146:147]
	v_fma_f64 v[50:51], v[50:51], 2.0, -v[165:166]
	ds_write_b128 v149, v[44:47] offset:48
	ds_write_b128 v155, v[100:103] offset:48
	v_add_f64 v[78:79], v[70:71], -v[78:79]
	v_fma_f64 v[56:57], v[128:129], 2.0, -v[104:105]
	v_fma_f64 v[58:59], v[130:131], 2.0, -v[106:107]
	v_add_f64 v[12:13], v[136:137], -v[167:168]
	v_add_f64 v[14:15], v[138:139], -v[169:170]
	v_fma_f64 v[120:121], v[132:133], 2.0, -v[108:109]
	v_fma_f64 v[122:123], v[134:135], 2.0, -v[110:111]
	v_add_f64 v[92:93], v[84:85], -v[92:93]
	v_add_f64 v[94:95], v[86:87], -v[94:95]
	;; [unrolled: 1-line block ×5, first 2 shown]
	v_fma_f64 v[102:103], v[64:65], 2.0, -v[72:73]
	v_fma_f64 v[44:45], v[140:141], 2.0, -v[32:33]
	;; [unrolled: 1-line block ×3, first 2 shown]
	ds_write_b128 v149, v[8:11] offset:16
	ds_write_b128 v149, v[104:107] offset:32
	;; [unrolled: 1-line block ×4, first 2 shown]
	ds_write_b128 v149, v[56:59]
	ds_write_b128 v155, v[120:123]
	v_add_f64 v[42:43], v[0:1], -v[28:29]
	v_add_f64 v[56:57], v[2:3], -v[30:31]
	;; [unrolled: 1-line block ×6, first 2 shown]
	v_fma_f64 v[104:105], v[66:67], 2.0, -v[74:75]
	v_fma_f64 v[40:41], v[52:53], 2.0, -v[60:61]
	;; [unrolled: 1-line block ×3, first 2 shown]
	v_add_f64 v[30:31], v[126:127], -v[50:51]
	v_fma_f64 v[106:107], v[68:69], 2.0, -v[76:77]
	v_fma_f64 v[108:109], v[70:71], 2.0, -v[78:79]
	;; [unrolled: 1-line block ×4, first 2 shown]
	ds_write_b128 v156, v[32:35] offset:48
	v_add_f64 v[32:33], v[144:145], -v[165:166]
	v_add_f64 v[34:35], v[146:147], v[163:164]
	v_fma_f64 v[84:85], v[84:85], 2.0, -v[92:93]
	v_fma_f64 v[86:87], v[86:87], 2.0, -v[94:95]
	;; [unrolled: 1-line block ×10, first 2 shown]
	v_add_f64 v[24:25], v[72:73], -v[62:63]
	v_add_f64 v[26:27], v[74:75], v[60:61]
	v_add_f64 v[20:21], v[102:103], -v[40:41]
	v_add_f64 v[22:23], v[104:105], -v[48:49]
	ds_write_b128 v156, v[44:47] offset:16
	ds_write_b128 v156, v[12:15] offset:32
	ds_write_b128 v156, v[8:11]
	v_add_f64 v[48:49], v[76:77], -v[56:57]
	v_fma_f64 v[0:1], v[124:125], 2.0, -v[28:29]
	v_fma_f64 v[2:3], v[126:127], 2.0, -v[30:31]
	v_add_f64 v[56:57], v[92:93], -v[80:81]
	v_add_f64 v[58:59], v[94:95], v[58:59]
	v_add_f64 v[8:9], v[16:17], -v[36:37]
	v_add_f64 v[10:11], v[18:19], -v[38:39]
	;; [unrolled: 1-line block ×4, first 2 shown]
	v_fma_f64 v[40:41], v[144:145], 2.0, -v[32:33]
	v_add_f64 v[44:45], v[106:107], -v[50:51]
	v_add_f64 v[46:47], v[108:109], -v[52:53]
	v_add_f64 v[50:51], v[78:79], v[42:43]
	v_fma_f64 v[42:43], v[146:147], 2.0, -v[34:35]
	v_add_f64 v[52:53], v[84:85], -v[54:55]
	v_add_f64 v[54:55], v[86:87], -v[64:65]
	;; [unrolled: 1-line block ×5, first 2 shown]
	v_add_f64 v[66:67], v[98:99], v[82:83]
	v_fma_f64 v[68:69], v[72:73], 2.0, -v[24:25]
	v_fma_f64 v[70:71], v[74:75], 2.0, -v[26:27]
	;; [unrolled: 1-line block ×4, first 2 shown]
	v_lshl_add_u32 v110, v161, 6, 0
	v_fma_f64 v[76:77], v[76:77], 2.0, -v[48:49]
	v_fma_f64 v[80:81], v[92:93], 2.0, -v[56:57]
	;; [unrolled: 1-line block ×3, first 2 shown]
	v_lshl_add_u32 v92, v160, 6, 0
	ds_write_b128 v110, v[0:3]
	v_add_f64 v[0:1], v[8:9], -v[14:15]
	v_add_f64 v[2:3], v[10:11], v[12:13]
	v_fma_f64 v[72:73], v[106:107], 2.0, -v[44:45]
	v_fma_f64 v[74:75], v[108:109], 2.0, -v[46:47]
	;; [unrolled: 1-line block ×3, first 2 shown]
	ds_write_b128 v110, v[40:43] offset:16
	v_fma_f64 v[40:41], v[84:85], 2.0, -v[52:53]
	v_fma_f64 v[42:43], v[86:87], 2.0, -v[54:55]
	;; [unrolled: 1-line block ×6, first 2 shown]
	ds_write_b128 v110, v[28:31] offset:32
	ds_write_b128 v110, v[32:35] offset:48
	ds_write_b128 v92, v[36:39]
	ds_write_b128 v92, v[68:71] offset:16
	ds_write_b128 v92, v[20:23] offset:32
	ds_write_b128 v92, v[24:27] offset:48
	v_mov_b32_e32 v20, v158
	buffer_store_dword v20, off, s[28:31], 0 offset:24 ; 4-byte Folded Spill
	buffer_store_dword v21, off, s[28:31], 0 offset:28 ; 4-byte Folded Spill
	v_lshl_add_u32 v28, v159, 6, 0
	v_mov_b32_e32 v21, v171
	v_lshl_add_u32 v20, v158, 6, 0
	ds_write_b128 v28, v[72:75]
	ds_write_b128 v28, v[76:79] offset:16
	ds_write_b128 v28, v[44:47] offset:32
	;; [unrolled: 1-line block ×3, first 2 shown]
	ds_write_b128 v20, v[40:43]
	buffer_store_dword v21, off, s[28:31], 0 offset:16 ; 4-byte Folded Spill
	buffer_store_dword v22, off, s[28:31], 0 offset:20 ; 4-byte Folded Spill
	v_lshl_add_u32 v21, v171, 6, 0
	ds_write_b128 v20, v[80:83] offset:16
	ds_write_b128 v20, v[52:55] offset:32
	;; [unrolled: 1-line block ×3, first 2 shown]
	ds_write_b128 v21, v[84:87]
	ds_write_b128 v21, v[88:91] offset:16
	ds_write_b128 v21, v[60:63] offset:32
	;; [unrolled: 1-line block ×3, first 2 shown]
	v_cmpx_gt_u32_e32 42, v148
	s_cbranch_execz .LBB0_15
; %bb.14:
	v_fma_f64 v[18:19], v[18:19], 2.0, -v[10:11]
	v_fma_f64 v[6:7], v[6:7], 2.0, -v[14:15]
	;; [unrolled: 1-line block ×6, first 2 shown]
	v_add_f64 v[6:7], v[18:19], -v[6:7]
	v_add_f64 v[4:5], v[16:17], -v[4:5]
	v_fma_f64 v[14:15], v[18:19], 2.0, -v[6:7]
	v_fma_f64 v[12:13], v[16:17], 2.0, -v[4:5]
	v_lshl_add_u32 v16, v157, 6, 0
	ds_write_b128 v16, v[8:11] offset:16
	ds_write_b128 v16, v[4:7] offset:32
	ds_write_b128 v16, v[12:15]
	ds_write_b128 v16, v[0:3] offset:48
.LBB0_15:
	s_or_b32 exec_lo, exec_lo, s1
	v_and_b32_e32 v163, 3, v148
	s_waitcnt lgkmcnt(0)
	s_waitcnt_vscnt null, 0x0
	s_barrier
	buffer_gl0_inv
	v_mov_b32_e32 v24, v159
	v_mul_u32_u24_e32 v4, 6, v163
	v_mad_i32_i24 v155, 0xffffffd0, v159, v28
	v_lshl_add_u32 v158, v154, 4, 0
	v_lshl_add_u32 v149, v208, 4, 0
	;; [unrolled: 1-line block ×3, first 2 shown]
	v_lshlrev_b32_e32 v20, 4, v4
	v_lshl_add_u32 v162, v160, 4, 0
	s_mov_b32 s16, 0xe976ee23
	s_mov_b32 s6, 0x429ad128
	;; [unrolled: 1-line block ×3, first 2 shown]
	s_clause 0x5
	global_load_dwordx4 v[32:35], v20, s[12:13]
	global_load_dwordx4 v[16:19], v20, s[12:13] offset:16
	global_load_dwordx4 v[4:7], v20, s[12:13] offset:32
	;; [unrolled: 1-line block ×5, first 2 shown]
	buffer_store_dword v24, off, s[28:31], 0 ; 4-byte Folded Spill
	buffer_store_dword v25, off, s[28:31], 0 offset:4 ; 4-byte Folded Spill
	buffer_store_dword v28, off, s[28:31], 0 offset:32 ; 4-byte Folded Spill
	ds_read_b128 v[84:87], v209 offset:6272
	ds_read_b128 v[80:83], v209 offset:7168
	;; [unrolled: 1-line block ×29, first 2 shown]
	ds_read_b128 v[24:27], v209
	ds_read_b128 v[164:167], v155
	;; [unrolled: 1-line block ×6, first 2 shown]
	buffer_store_dword v208, off, s[28:31], 0 offset:8 ; 4-byte Folded Spill
	buffer_store_dword v209, off, s[28:31], 0 offset:12 ; 4-byte Folded Spill
	s_mov_b32 s20, 0x37e14327
	s_mov_b32 s17, 0xbfe11646
	;; [unrolled: 1-line block ×17, first 2 shown]
	v_mov_b32_e32 v208, v157
	s_waitcnt vmcnt(5) lgkmcnt(4)
	v_mul_f64 v[184:185], v[166:167], v[34:35]
	v_mul_f64 v[186:187], v[164:165], v[34:35]
	;; [unrolled: 1-line block ×10, first 2 shown]
	s_waitcnt vmcnt(4)
	v_mul_f64 v[206:207], v[66:67], v[18:19]
	v_mul_f64 v[222:223], v[92:93], v[18:19]
	;; [unrolled: 1-line block ×5, first 2 shown]
	s_waitcnt vmcnt(3)
	v_mul_f64 v[226:227], v[54:55], v[6:7]
	v_mul_f64 v[228:229], v[52:53], v[6:7]
	;; [unrolled: 1-line block ×8, first 2 shown]
	v_fma_f64 v[164:165], v[164:165], v[32:33], -v[184:185]
	v_fma_f64 v[166:167], v[166:167], v[32:33], v[186:187]
	s_waitcnt vmcnt(0)
	v_mul_f64 v[184:185], v[98:99], v[22:23]
	v_fma_f64 v[144:145], v[144:145], v[32:33], -v[188:189]
	v_fma_f64 v[146:147], v[146:147], v[32:33], v[190:191]
	v_mul_f64 v[188:189], v[102:103], v[6:7]
	v_mul_f64 v[6:7], v[100:101], v[6:7]
	v_fma_f64 v[84:85], v[84:85], v[32:33], -v[192:193]
	v_fma_f64 v[86:87], v[86:87], v[32:33], v[194:195]
	v_mul_f64 v[190:191], v[96:97], v[22:23]
	;; [unrolled: 4-line block ×4, first 2 shown]
	v_mul_f64 v[78:79], v[110:111], v[22:23]
	v_mul_f64 v[198:199], v[108:109], v[22:23]
	;; [unrolled: 1-line block ×4, first 2 shown]
	v_fma_f64 v[64:65], v[64:65], v[16:17], -v[206:207]
	v_mul_f64 v[206:207], v[118:119], v[14:15]
	v_fma_f64 v[94:95], v[94:95], v[16:17], v[222:223]
	v_mul_f64 v[222:223], v[134:135], v[10:11]
	v_mul_f64 v[202:203], v[62:63], v[18:19]
	;; [unrolled: 1-line block ×9, first 2 shown]
	v_fma_f64 v[56:57], v[56:57], v[16:17], -v[216:217]
	v_fma_f64 v[52:53], v[52:53], v[4:5], -v[226:227]
	v_fma_f64 v[54:55], v[54:55], v[4:5], v[228:229]
	v_fma_f64 v[48:49], v[48:49], v[4:5], -v[230:231]
	v_fma_f64 v[50:51], v[50:51], v[4:5], v[232:233]
	;; [unrolled: 2-line block ×10, first 2 shown]
	v_fma_f64 v[102:103], v[116:117], v[12:13], -v[206:207]
	v_fma_f64 v[106:107], v[132:133], v[8:9], -v[222:223]
	v_mul_f64 v[244:245], v[44:45], v[14:15]
	v_fma_f64 v[60:61], v[60:61], v[16:17], -v[202:203]
	v_fma_f64 v[62:63], v[62:63], v[16:17], v[204:205]
	v_mul_f64 v[202:203], v[30:31], v[14:15]
	v_fma_f64 v[66:67], v[66:67], v[16:17], v[214:215]
	v_mul_f64 v[204:205], v[28:29], v[14:15]
	;; [unrolled: 2-line block ×3, first 2 shown]
	v_mul_f64 v[216:217], v[114:115], v[14:15]
	v_fma_f64 v[92:93], v[92:93], v[16:17], -v[220:221]
	v_mul_f64 v[218:219], v[112:113], v[14:15]
	v_mul_f64 v[220:221], v[126:127], v[10:11]
	v_fma_f64 v[88:89], v[88:89], v[16:17], -v[224:225]
	v_fma_f64 v[16:17], v[90:91], v[16:17], v[18:19]
	v_mul_f64 v[18:19], v[124:125], v[10:11]
	v_mul_f64 v[90:91], v[122:123], v[14:15]
	;; [unrolled: 1-line block ×8, first 2 shown]
	v_fma_f64 v[44:45], v[44:45], v[12:13], -v[242:243]
	v_fma_f64 v[128:129], v[128:129], v[8:9], -v[246:247]
	v_fma_f64 v[130:131], v[130:131], v[8:9], v[186:187]
	v_add_f64 v[184:185], v[84:85], v[106:107]
	v_add_f64 v[186:187], v[56:57], v[102:103]
	v_fma_f64 v[46:47], v[46:47], v[12:13], v[244:245]
	v_fma_f64 v[28:29], v[28:29], v[12:13], -v[202:203]
	v_fma_f64 v[30:31], v[30:31], v[12:13], v[204:205]
	v_fma_f64 v[104:105], v[118:119], v[12:13], v[214:215]
	v_fma_f64 v[108:109], v[112:113], v[12:13], -v[216:217]
	v_fma_f64 v[110:111], v[114:115], v[12:13], v[218:219]
	v_fma_f64 v[22:23], v[124:125], v[8:9], -v[220:221]
	v_add_f64 v[188:189], v[72:73], v[36:37]
	v_add_f64 v[36:37], v[36:37], -v[72:73]
	v_fma_f64 v[18:19], v[126:127], v[8:9], v[18:19]
	v_fma_f64 v[90:91], v[120:121], v[12:13], -v[90:91]
	v_fma_f64 v[12:13], v[122:123], v[12:13], v[14:15]
	v_fma_f64 v[112:113], v[134:135], v[8:9], v[224:225]
	v_fma_f64 v[14:15], v[136:137], v[8:9], -v[226:227]
	v_fma_f64 v[114:115], v[138:139], v[8:9], v[228:229]
	v_fma_f64 v[116:117], v[140:141], v[8:9], -v[230:231]
	v_fma_f64 v[8:9], v[142:143], v[8:9], v[10:11]
	v_add_f64 v[118:119], v[60:61], v[44:45]
	v_add_f64 v[10:11], v[164:165], v[128:129]
	;; [unrolled: 1-line block ×5, first 2 shown]
	v_add_f64 v[38:39], v[38:39], -v[68:69]
	v_add_f64 v[134:135], v[64:65], v[28:29]
	v_add_f64 v[138:139], v[66:67], v[30:31]
	v_add_f64 v[28:29], v[64:65], -v[28:29]
	v_add_f64 v[30:31], v[66:67], -v[30:31]
	;; [unrolled: 1-line block ×4, first 2 shown]
	v_add_f64 v[120:121], v[166:167], v[130:131]
	v_add_f64 v[122:123], v[62:63], v[46:47]
	;; [unrolled: 1-line block ×5, first 2 shown]
	v_add_f64 v[12:13], v[16:17], -v[12:13]
	v_add_f64 v[136:137], v[146:147], v[18:19]
	v_add_f64 v[68:69], v[82:83], -v[114:115]
	v_add_f64 v[140:141], v[48:49], v[40:41]
	v_add_f64 v[142:143], v[50:51], v[42:43]
	;; [unrolled: 1-line block ×14, first 2 shown]
	v_add_f64 v[234:235], v[66:67], -v[64:65]
	v_add_f64 v[44:45], v[60:61], -v[44:45]
	;; [unrolled: 1-line block ×11, first 2 shown]
	v_add_f64 v[66:67], v[124:125], v[16:17]
	v_add_f64 v[194:195], v[74:75], v[34:35]
	;; [unrolled: 1-line block ×3, first 2 shown]
	s_waitcnt lgkmcnt(2)
	v_add_f64 v[16:17], v[172:173], v[72:73]
	s_clause 0x1
	buffer_load_dword v172, off, s[28:31], 0 offset:8
	buffer_load_dword v173, off, s[28:31], 0 offset:12
	v_add_f64 v[218:219], v[100:101], v[98:99]
	v_add_f64 v[224:225], v[4:5], v[20:21]
	v_add_f64 v[18:19], v[146:147], -v[18:19]
	v_add_f64 v[48:49], v[56:57], -v[102:103]
	;; [unrolled: 1-line block ×13, first 2 shown]
	v_add_f64 v[20:21], v[122:123], v[120:121]
	v_add_f64 v[32:33], v[134:135], v[132:133]
	;; [unrolled: 1-line block ×8, first 2 shown]
	v_add_f64 v[90:91], v[126:127], -v[122:123]
	v_add_f64 v[92:93], v[120:121], -v[126:127]
	;; [unrolled: 1-line block ×8, first 2 shown]
	v_add_f64 v[128:129], v[6:7], v[44:45]
	v_add_f64 v[130:131], v[6:7], -v[44:45]
	v_add_f64 v[44:45], v[44:45], -v[52:53]
	v_add_f64 v[132:133], v[54:55], v[46:47]
	v_add_f64 v[134:135], v[54:55], -v[46:47]
	v_add_f64 v[46:47], v[46:47], -v[60:61]
	;; [unrolled: 3-line block ×4, first 2 shown]
	v_add_f64 v[86:87], v[124:125], -v[118:119]
	v_add_f64 v[10:11], v[10:11], -v[124:125]
	;; [unrolled: 1-line block ×12, first 2 shown]
	v_add_f64 v[164:165], v[36:37], v[48:49]
	v_add_f64 v[166:167], v[36:37], -v[48:49]
	v_add_f64 v[48:49], v[48:49], -v[50:51]
	v_add_f64 v[184:185], v[34:35], v[56:57]
	v_add_f64 v[186:187], v[34:35], -v[56:57]
	v_add_f64 v[56:57], v[56:57], -v[58:59]
	;; [unrolled: 3-line block ×3, first 2 shown]
	v_add_f64 v[124:125], v[126:127], v[20:21]
	v_add_f64 v[32:33], v[140:141], v[32:33]
	;; [unrolled: 1-line block ×11, first 2 shown]
	v_mul_f64 v[80:81], v[130:131], s[16:17]
	v_mul_f64 v[82:83], v[44:45], s[6:7]
	;; [unrolled: 1-line block ×9, first 2 shown]
	v_add_f64 v[118:119], v[192:193], -v[190:191]
	v_add_f64 v[42:43], v[18:19], -v[42:43]
	;; [unrolled: 1-line block ×15, first 2 shown]
	v_add_f64 v[238:239], v[100:101], v[8:9]
	v_add_f64 v[240:241], v[222:223], -v[220:221]
	v_add_f64 v[222:223], v[224:225], -v[222:223]
	;; [unrolled: 1-line block ×5, first 2 shown]
	v_add_f64 v[246:247], v[4:5], v[12:13]
	v_add_f64 v[248:249], v[4:5], -v[12:13]
	v_add_f64 v[250:251], v[12:13], -v[104:105]
	v_add_f64 v[60:61], v[132:133], v[60:61]
	v_add_f64 v[50:51], v[164:165], v[50:51]
	;; [unrolled: 1-line block ×3, first 2 shown]
	v_mul_f64 v[132:133], v[10:11], s[20:21]
	v_mul_f64 v[134:135], v[86:87], s[8:9]
	;; [unrolled: 1-line block ×15, first 2 shown]
	v_add_f64 v[226:227], v[226:227], v[14:15]
	v_add_f64 v[228:229], v[228:229], v[68:69]
	v_mul_f64 v[68:69], v[232:233], s[16:17]
	v_mul_f64 v[232:233], v[62:63], s[6:7]
	;; [unrolled: 1-line block ×3, first 2 shown]
	v_add_f64 v[8:9], v[24:25], v[66:67]
	v_add_f64 v[10:11], v[26:27], v[124:125]
	v_add_f64 v[12:13], v[168:169], v[32:33]
	v_add_f64 v[14:15], v[170:171], v[70:71]
	v_add_f64 v[18:19], v[174:175], v[74:75]
	v_fma_f64 v[44:45], v[44:45], s[6:7], -v[80:81]
	v_fma_f64 v[82:83], v[6:7], s[4:5], -v[82:83]
	v_fma_f64 v[6:7], v[6:7], s[0:1], v[80:81]
	v_fma_f64 v[46:47], v[46:47], s[6:7], -v[128:129]
	v_fma_f64 v[80:81], v[54:55], s[4:5], -v[130:131]
	v_fma_f64 v[54:55], v[54:55], s[0:1], v[128:129]
	;; [unrolled: 3-line block ×4, first 2 shown]
	v_fma_f64 v[30:31], v[30:31], s[6:7], -v[146:147]
	v_mul_f64 v[252:253], v[64:65], s[6:7]
	v_fma_f64 v[128:129], v[84:85], s[18:19], -v[134:135]
	v_fma_f64 v[84:85], v[84:85], s[14:15], -v[132:133]
	v_fma_f64 v[86:87], v[86:87], s[8:9], v[132:133]
	v_fma_f64 v[132:133], v[42:43], s[4:5], -v[164:165]
	v_fma_f64 v[42:43], v[42:43], s[0:1], v[146:147]
	v_fma_f64 v[134:135], v[94:95], s[18:19], -v[184:185]
	v_fma_f64 v[94:95], v[94:95], s[14:15], -v[98:99]
	v_fma_f64 v[96:97], v[96:97], s[8:9], v[98:99]
	v_fma_f64 v[98:99], v[106:107], s[18:19], -v[194:195]
	;; [unrolled: 3-line block ×8, first 2 shown]
	v_fma_f64 v[38:39], v[66:67], s[24:25], v[8:9]
	v_fma_f64 v[62:63], v[124:125], s[24:25], v[10:11]
	;; [unrolled: 1-line block ×16, first 2 shown]
	v_mul_f64 v[254:255], v[192:193], s[8:9]
	v_mul_f64 v[196:197], v[196:197], s[20:21]
	v_mul_f64 v[210:211], v[204:205], s[8:9]
	s_waitcnt lgkmcnt(1)
	v_add_f64 v[20:21], v[176:177], v[126:127]
	v_add_f64 v[22:23], v[178:179], v[140:141]
	v_fma_f64 v[70:71], v[78:79], s[22:23], v[132:133]
	v_fma_f64 v[72:73], v[78:79], s[22:23], v[42:43]
	;; [unrolled: 1-line block ×4, first 2 shown]
	v_add_f64 v[42:43], v[128:129], v[38:39]
	v_add_f64 v[48:49], v[130:131], v[62:63]
	v_fma_f64 v[110:111], v[50:51], s[22:23], v[36:37]
	v_fma_f64 v[80:81], v[58:59], s[22:23], v[56:57]
	v_add_f64 v[50:51], v[84:85], v[38:39]
	v_add_f64 v[56:57], v[88:89], v[62:63]
	v_fma_f64 v[88:89], v[58:59], s[22:23], v[136:137]
	v_fma_f64 v[128:129], v[58:59], s[22:23], v[34:35]
	v_add_f64 v[58:59], v[86:87], v[38:39]
	v_add_f64 v[62:63], v[90:91], v[62:63]
	;; [unrolled: 1-line block ×14, first 2 shown]
	v_mul_f64 v[202:203], v[202:203], s[20:21]
	v_mul_f64 v[212:213], v[216:217], s[8:9]
	v_mul_f64 v[156:157], v[222:223], s[8:9]
	s_waitcnt lgkmcnt(0)
	v_add_f64 v[24:25], v[180:181], v[142:143]
	v_add_f64 v[26:27], v[182:183], v[188:189]
	v_fma_f64 v[124:125], v[190:191], s[18:19], -v[254:255]
	v_fma_f64 v[166:167], v[198:199], s[18:19], -v[210:211]
	v_add_f64 v[28:29], v[42:43], -v[46:47]
	v_add_f64 v[30:31], v[44:45], v[48:49]
	v_add_f64 v[32:33], v[46:47], v[42:43]
	v_add_f64 v[34:35], v[48:49], -v[44:45]
	v_add_f64 v[36:37], v[52:53], v[50:51]
	v_add_f64 v[38:39], v[56:57], -v[64:65]
	v_add_f64 v[40:41], v[50:51], -v[52:53]
	v_add_f64 v[42:43], v[64:65], v[56:57]
	v_add_f64 v[44:45], v[54:55], v[58:59]
	v_add_f64 v[46:47], v[62:63], -v[6:7]
	v_add_f64 v[48:49], v[58:59], -v[54:55]
	v_add_f64 v[50:51], v[6:7], v[62:63]
	v_add_f64 v[52:53], v[74:75], -v[68:69]
	v_add_f64 v[54:55], v[60:61], v[86:87]
	v_add_f64 v[56:57], v[68:69], v[74:75]
	v_add_f64 v[58:59], v[86:87], -v[60:61]
	v_add_f64 v[60:61], v[70:71], v[78:79]
	v_add_f64 v[62:63], v[90:91], -v[66:67]
	v_add_f64 v[64:65], v[78:79], -v[70:71]
	v_add_f64 v[66:67], v[66:67], v[90:91]
	v_add_f64 v[70:71], v[94:95], -v[76:77]
	v_add_f64 v[74:75], v[76:77], v[94:95]
	;; [unrolled: 2-line block ×3, first 2 shown]
	v_add_f64 v[80:81], v[80:81], v[96:97]
	v_add_f64 v[82:83], v[98:99], -v[82:83]
	v_add_f64 v[86:87], v[108:109], -v[92:93]
	v_add_f64 v[90:91], v[92:93], v[108:109]
	v_add_f64 v[92:93], v[128:129], v[112:113]
	v_add_f64 v[94:95], v[114:115], -v[110:111]
	v_add_f64 v[96:97], v[112:113], -v[128:129]
	v_add_f64 v[98:99], v[110:111], v[114:115]
	v_fma_f64 v[6:7], v[126:127], s[24:25], v[20:21]
	v_add_f64 v[100:101], v[102:103], -v[100:101]
	v_mul_f64 v[108:109], v[242:243], s[16:17]
	v_fma_f64 v[110:111], v[140:141], s[24:25], v[22:23]
	v_mul_f64 v[112:113], v[214:215], s[20:21]
	v_mul_f64 v[116:117], v[220:221], s[20:21]
	v_fma_f64 v[120:121], v[236:237], s[4:5], -v[252:253]
	v_fma_f64 v[126:127], v[236:237], s[0:1], v[234:235]
	v_fma_f64 v[128:129], v[190:191], s[14:15], -v[196:197]
	v_fma_f64 v[130:131], v[192:193], s[8:9], v[196:197]
	v_add_f64 v[68:69], v[72:73], v[84:85]
	v_add_f64 v[72:73], v[84:85], -v[72:73]
	v_add_f64 v[84:85], v[88:89], v[106:107]
	v_add_f64 v[88:89], v[106:107], -v[88:89]
	v_mul_f64 v[106:107], v[248:249], s[16:17]
	v_add_f64 v[4:5], v[104:105], -v[4:5]
	v_mul_f64 v[114:115], v[250:251], s[6:7]
	v_mul_f64 v[118:119], v[244:245], s[6:7]
	v_fma_f64 v[132:133], v[198:199], s[14:15], -v[202:203]
	v_mov_b32_e32 v254, v159
	v_mov_b32_e32 v159, v160
	v_fma_f64 v[134:135], v[204:205], s[8:9], v[202:203]
	v_fma_f64 v[122:123], v[226:227], s[22:23], v[122:123]
	v_add_f64 v[136:137], v[238:239], v[102:103]
	v_add_f64 v[138:139], v[246:247], v[104:105]
	v_fma_f64 v[102:103], v[230:231], s[18:19], -v[212:213]
	v_fma_f64 v[104:105], v[240:241], s[18:19], -v[156:157]
	v_fma_f64 v[140:141], v[228:229], s[22:23], v[164:165]
	v_add_f64 v[124:125], v[124:125], v[6:7]
	v_fma_f64 v[142:143], v[142:143], s[24:25], v[24:25]
	v_fma_f64 v[164:165], v[188:189], s[24:25], v[26:27]
	v_fma_f64 v[168:169], v[244:245], s[6:7], -v[108:109]
	v_add_f64 v[166:167], v[166:167], v[110:111]
	v_fma_f64 v[170:171], v[230:231], s[14:15], -v[112:113]
	v_fma_f64 v[112:113], v[216:217], s[8:9], v[112:113]
	v_fma_f64 v[108:109], v[100:101], s[0:1], v[108:109]
	;; [unrolled: 1-line block ×3, first 2 shown]
	v_add_f64 v[128:129], v[128:129], v[6:7]
	v_fma_f64 v[126:127], v[228:229], s[22:23], v[126:127]
	v_add_f64 v[6:7], v[130:131], v[6:7]
	v_fma_f64 v[114:115], v[4:5], s[4:5], -v[114:115]
	v_fma_f64 v[4:5], v[4:5], s[0:1], v[106:107]
	v_fma_f64 v[156:157], v[250:251], s[6:7], -v[106:107]
	v_fma_f64 v[118:119], v[100:101], s[4:5], -v[118:119]
	v_fma_f64 v[144:145], v[226:227], s[22:23], v[144:145]
	v_add_f64 v[132:133], v[132:133], v[110:111]
	v_add_f64 v[130:131], v[134:135], v[110:111]
	v_fma_f64 v[146:147], v[226:227], s[22:23], v[146:147]
	s_waitcnt vmcnt(0)
	s_waitcnt_vscnt null, 0x0
	s_barrier
	buffer_gl0_inv
	v_add_f64 v[134:135], v[102:103], v[142:143]
	v_add_f64 v[174:175], v[104:105], v[164:165]
	v_fma_f64 v[168:169], v[136:137], s[22:23], v[168:169]
	v_add_f64 v[102:103], v[122:123], v[166:167]
	v_add_f64 v[106:107], v[166:167], -v[122:123]
	v_mov_b32_e32 v160, v172
	v_fma_f64 v[172:173], v[240:241], s[14:15], -v[116:117]
	v_fma_f64 v[116:117], v[222:223], s[8:9], v[116:117]
	v_add_f64 v[166:167], v[112:113], v[142:143]
	v_fma_f64 v[180:181], v[136:137], s[22:23], v[108:109]
	v_add_f64 v[108:109], v[120:121], v[128:129]
	v_add_f64 v[112:113], v[128:129], -v[120:121]
	v_add_f64 v[120:121], v[6:7], -v[126:127]
	v_fma_f64 v[4:5], v[138:139], s[22:23], v[4:5]
	v_fma_f64 v[156:157], v[138:139], s[22:23], v[156:157]
	v_add_f64 v[170:171], v[170:171], v[142:143]
	v_fma_f64 v[176:177], v[138:139], s[22:23], v[114:115]
	v_fma_f64 v[178:179], v[136:137], s[22:23], v[118:119]
	v_add_f64 v[110:111], v[132:133], -v[144:145]
	v_add_f64 v[114:115], v[144:145], v[132:133]
	v_add_f64 v[100:101], v[124:125], -v[140:141]
	v_add_f64 v[104:105], v[140:141], v[124:125]
	;; [unrolled: 2-line block ×3, first 2 shown]
	v_add_f64 v[130:131], v[174:175], -v[168:169]
	v_mov_b32_e32 v252, v158
	v_mov_b32_e32 v249, v208
	;; [unrolled: 1-line block ×3, first 2 shown]
	v_add_f64 v[172:173], v[172:173], v[164:165]
	v_add_f64 v[164:165], v[116:117], v[164:165]
	;; [unrolled: 1-line block ×3, first 2 shown]
	v_lshrrev_b32_e32 v6, 2, v148
	v_lshrrev_b32_e32 v7, 2, v154
	v_add_f64 v[126:127], v[168:169], v[174:175]
	v_lshl_add_u32 v147, v249, 4, 0
	v_add_f64 v[140:141], v[4:5], v[166:167]
	v_mul_u32_u24_e32 v6, 28, v6
	v_mul_lo_u32 v144, v7, 28
	v_add_f64 v[124:125], v[134:135], -v[156:157]
	v_add_f64 v[128:129], v[156:157], v[134:135]
	v_add_f64 v[132:133], v[176:177], v[170:171]
	v_or_b32_e32 v6, v6, v163
	v_add_f64 v[136:137], v[170:171], -v[176:177]
	v_add_f64 v[4:5], v[166:167], -v[4:5]
	v_mov_b32_e32 v253, v149
	v_cmp_gt_u32_e64 s0, 28, v148
	v_lshl_add_u32 v145, v6, 4, 0
	v_add_f64 v[134:135], v[172:173], -v[178:179]
	ds_write_b128 v145, v[8:11]
	v_lshrrev_b32_e32 v10, 2, v161
	v_lshrrev_b32_e32 v8, 2, v160
	v_or_b32_e32 v9, v144, v163
	v_lshrrev_b32_e32 v11, 2, v159
	v_add_f64 v[142:143], v[164:165], -v[180:181]
	v_mul_lo_u32 v10, v10, 28
	v_mul_lo_u32 v8, v8, 28
	v_lshl_add_u32 v9, v9, 4, 0
	ds_write_b128 v145, v[44:47] offset:64
	ds_write_b128 v145, v[36:39] offset:128
	;; [unrolled: 1-line block ×6, first 2 shown]
	ds_write_b128 v9, v[12:15]
	ds_write_b128 v9, v[68:71] offset:64
	ds_write_b128 v9, v[60:63] offset:128
	;; [unrolled: 1-line block ×6, first 2 shown]
	v_or_b32_e32 v9, v10, v163
	v_mul_lo_u32 v10, v11, 28
	v_add_f64 v[138:139], v[178:179], v[172:173]
	v_add_f64 v[6:7], v[180:181], v[164:165]
	v_or_b32_e32 v8, v8, v163
	v_lshl_add_u32 v9, v9, 4, 0
	v_lshl_add_u32 v8, v8, 4, 0
	v_or_b32_e32 v10, v10, v163
	ds_write_b128 v8, v[16:19]
	ds_write_b128 v8, v[92:95] offset:64
	ds_write_b128 v8, v[84:87] offset:128
	;; [unrolled: 1-line block ×6, first 2 shown]
	ds_write_b128 v9, v[20:23]
	ds_write_b128 v9, v[116:119] offset:64
	ds_write_b128 v9, v[108:111] offset:128
	v_lshl_add_u32 v8, v10, 4, 0
	ds_write_b128 v9, v[100:103] offset:192
	ds_write_b128 v9, v[104:107] offset:256
	;; [unrolled: 1-line block ×4, first 2 shown]
	ds_write_b128 v8, v[24:27]
	ds_write_b128 v8, v[140:143] offset:64
	ds_write_b128 v8, v[132:135] offset:128
	;; [unrolled: 1-line block ×6, first 2 shown]
	s_waitcnt lgkmcnt(0)
	s_barrier
	buffer_gl0_inv
	ds_read_b128 v[8:11], v158
	ds_read_b128 v[12:15], v149
	ds_read_b128 v[116:119], v209 offset:16576
	ds_read_b128 v[112:115], v209 offset:17472
	ds_read_b128 v[16:19], v254
	ds_read_b128 v[20:23], v162
	ds_read_b128 v[108:111], v209 offset:18368
	ds_read_b128 v[128:131], v209 offset:19264
	s_clause 0x3
	buffer_load_dword v24, off, s[28:31], 0 offset:24
	buffer_load_dword v25, off, s[28:31], 0 offset:28
	;; [unrolled: 1-line block ×4, first 2 shown]
	s_waitcnt vmcnt(3)
	v_mov_b32_e32 v158, v24
	s_waitcnt vmcnt(1)
	v_lshl_add_u32 v214, v250, 4, 0
	v_lshl_add_u32 v215, v158, 4, 0
	ds_read_b128 v[136:139], v209 offset:20160
	ds_read_b128 v[132:135], v209 offset:21056
	ds_read_b128 v[60:63], v215
	ds_read_b128 v[48:51], v214
	;; [unrolled: 1-line block ×4, first 2 shown]
	ds_read_b128 v[124:127], v209 offset:21952
	ds_read_b128 v[120:123], v209 offset:22848
	ds_read_b128 v[72:75], v209
	ds_read_b128 v[24:27], v209 offset:8064
	ds_read_b128 v[104:107], v209 offset:23744
	;; [unrolled: 1-line block ×17, first 2 shown]
	s_and_saveexec_b32 s1, s0
	s_cbranch_execz .LBB0_17
; %bb.16:
	ds_read_b128 v[4:7], v209 offset:15232
	ds_read_b128 v[0:3], v209 offset:30912
.LBB0_17:
	s_or_b32 exec_lo, exec_lo, s1
	s_clause 0x1
	buffer_load_dword v156, off, s[28:31], 0
	buffer_load_dword v157, off, s[28:31], 0 offset:4
	v_subrev_nc_u32_e32 v144, 28, v148
	v_mov_b32_e32 v170, 0
	v_lshrrev_b16 v145, 2, v159
	v_mov_b32_e32 v155, 0x4925
	s_waitcnt vmcnt(0)
	v_lshrrev_b16 v157, 2, v158
	v_cndmask_b32_e64 v169, v144, v148, s0
	v_mov_b32_e32 v163, 4
	v_add_nc_u32_e32 v168, 0x1f8, v148
	v_add_nc_u32_e32 v167, 0x230, v148
	;; [unrolled: 1-line block ×5, first 2 shown]
	v_lshrrev_b16 v210, 2, v167
	v_lshrrev_b16 v211, 2, v166
	v_lshrrev_b16 v212, 2, v165
	v_lshrrev_b16 v213, 2, v164
	v_mul_u32_u24_sdwa v210, v210, v155 dst_sel:DWORD dst_unused:UNUSED_PAD src0_sel:WORD_0 src1_sel:DWORD
	v_mul_u32_u24_sdwa v239, v211, v155 dst_sel:DWORD dst_unused:UNUSED_PAD src0_sel:WORD_0 src1_sel:DWORD
	;; [unrolled: 1-line block ×4, first 2 shown]
	v_lshrrev_b32_e32 v240, 17, v210
	v_lshrrev_b32_e32 v239, 17, v239
	;; [unrolled: 1-line block ×4, first 2 shown]
	v_mul_lo_u16 v243, v240, 28
	v_mov_b32_e32 v149, v156
	v_mul_u32_u24_sdwa v156, v145, v155 dst_sel:DWORD dst_unused:UNUSED_PAD src0_sel:WORD_0 src1_sel:DWORD
	v_lshlrev_b64 v[144:145], 4, v[169:170]
	v_lshrrev_b16 v146, 2, v149
	v_lshrrev_b32_e32 v177, 17, v156
	v_mul_u32_u24_sdwa v156, v157, v155 dst_sel:DWORD dst_unused:UNUSED_PAD src0_sel:WORD_0 src1_sel:DWORD
	v_add_co_u32 v144, s1, s12, v144
	v_mul_u32_u24_sdwa v146, v146, v155 dst_sel:DWORD dst_unused:UNUSED_PAD src0_sel:WORD_0 src1_sel:DWORD
	v_add_co_ci_u32_e64 v145, s1, s13, v145, s1
	v_lshrrev_b32_e32 v173, 17, v156
	v_lshrrev_b16 v156, 2, v250
	v_lshrrev_b32_e32 v174, 17, v146
	v_mul_lo_u16 v146, v177, 28
	global_load_dwordx4 v[189:192], v[144:145], off offset:384
	v_lshrrev_b16 v157, 2, v249
	v_mul_u32_u24_sdwa v156, v156, v155 dst_sel:DWORD dst_unused:UNUSED_PAD src0_sel:WORD_0 src1_sel:DWORD
	v_mul_lo_u16 v144, v174, 28
	v_sub_nc_u16 v145, v159, v146
	v_lshrrev_b16 v146, 2, v154
	v_cmp_lt_u32_e64 s1, 27, v148
	v_lshrrev_b32_e32 v184, 17, v156
	v_sub_nc_u16 v144, v149, v144
	v_lshlrev_b32_sdwa v172, v163, v145 dst_sel:DWORD dst_unused:UNUSED_PAD src0_sel:DWORD src1_sel:WORD_0
	v_mul_lo_u16 v145, v173, 28
	v_lshlrev_b32_sdwa v175, v163, v144 dst_sel:DWORD dst_unused:UNUSED_PAD src0_sel:DWORD src1_sel:WORD_0
	global_load_dwordx4 v[193:196], v172, s[12:13] offset:384
	v_sub_nc_u16 v144, v158, v145
	v_and_b32_e32 v145, 63, v146
	v_mul_u32_u24_sdwa v146, v157, v155 dst_sel:DWORD dst_unused:UNUSED_PAD src0_sel:WORD_0 src1_sel:DWORD
	global_load_dwordx4 v[197:200], v175, s[12:13] offset:384
	v_lshlrev_b32_sdwa v178, v163, v144 dst_sel:DWORD dst_unused:UNUSED_PAD src0_sel:DWORD src1_sel:WORD_0
	v_mul_lo_u16 v144, v145, 37
	v_mul_lo_u16 v145, v184, 28
	v_lshrrev_b32_e32 v181, 17, v146
	global_load_dwordx4 v[201:204], v178, s[12:13] offset:384
	v_lshrrev_b16 v183, 8, v144
	v_sub_nc_u16 v145, v250, v145
	v_mul_lo_u16 v146, v181, 28
	v_lshlrev_b32_sdwa v179, v163, v145 dst_sel:DWORD dst_unused:UNUSED_PAD src0_sel:DWORD src1_sel:WORD_0
	v_sub_nc_u16 v144, v249, v146
	v_mul_lo_u16 v145, v183, 28
	v_add_nc_u32_e32 v146, 0x310, v148
	global_load_dwordx4 v[205:208], v179, s[12:13] offset:384
	v_lshlrev_b32_sdwa v180, v163, v144 dst_sel:DWORD dst_unused:UNUSED_PAD src0_sel:DWORD src1_sel:WORD_0
	v_sub_nc_u16 v144, v154, v145
	v_lshrrev_b16 v145, 2, v161
	v_lshrrev_b16 v236, 2, v146
	global_load_dwordx4 v[216:219], v180, s[12:13] offset:384
	v_lshlrev_b32_sdwa v182, v163, v144 dst_sel:DWORD dst_unused:UNUSED_PAD src0_sel:DWORD src1_sel:BYTE_0
	v_lshrrev_b16 v144, 2, v160
	v_and_b32_e32 v145, 63, v145
	v_mul_u32_u24_sdwa v236, v236, v155 dst_sel:DWORD dst_unused:UNUSED_PAD src0_sel:WORD_0 src1_sel:DWORD
	global_load_dwordx4 v[220:223], v182, s[12:13] offset:384
	v_and_b32_e32 v144, 63, v144
	v_lshrrev_b32_e32 v236, 17, v236
	v_mul_lo_u16 v144, v144, 37
	v_mul_lo_u16 v244, v236, 28
	v_lshrrev_b16 v185, 8, v144
	v_mul_lo_u16 v144, v185, 28
	v_sub_nc_u16 v144, v160, v144
	v_lshlrev_b32_sdwa v171, v163, v144 dst_sel:DWORD dst_unused:UNUSED_PAD src0_sel:DWORD src1_sel:BYTE_0
	v_mul_lo_u16 v144, v145, 37
	v_lshrrev_b16 v145, 2, v168
	global_load_dwordx4 v[224:227], v171, s[12:13] offset:384
	v_lshrrev_b16 v187, 8, v144
	v_mul_u32_u24_sdwa v144, v145, v155 dst_sel:DWORD dst_unused:UNUSED_PAD src0_sel:WORD_0 src1_sel:DWORD
	v_mul_lo_u16 v145, v187, 28
	v_lshrrev_b32_e32 v186, 17, v144
	v_sub_nc_u16 v144, v161, v145
	v_mul_lo_u16 v156, v186, 28
	v_add_nc_u32_e32 v145, 0x348, v148
	v_lshlrev_b32_sdwa v176, v163, v144 dst_sel:DWORD dst_unused:UNUSED_PAD src0_sel:DWORD src1_sel:BYTE_0
	v_sub_nc_u16 v156, v168, v156
	v_or_b32_e32 v144, 0x380, v148
	v_lshrrev_b16 v237, 2, v145
	global_load_dwordx4 v[228:231], v176, s[12:13] offset:384
	v_lshlrev_b32_sdwa v188, v163, v156 dst_sel:DWORD dst_unused:UNUSED_PAD src0_sel:DWORD src1_sel:WORD_0
	v_lshrrev_b16 v238, 2, v144
	v_mul_u32_u24_sdwa v237, v237, v155 dst_sel:DWORD dst_unused:UNUSED_PAD src0_sel:WORD_0 src1_sel:DWORD
	global_load_dwordx4 v[232:235], v188, s[12:13] offset:384
	v_mul_u32_u24_sdwa v238, v238, v155 dst_sel:DWORD dst_unused:UNUSED_PAD src0_sel:WORD_0 src1_sel:DWORD
	v_lshrrev_b32_e32 v237, 17, v237
	s_waitcnt vmcnt(9) lgkmcnt(3)
	v_mul_f64 v[156:157], v[142:143], v[191:192]
	v_mul_f64 v[191:192], v[140:141], v[191:192]
	s_waitcnt vmcnt(8)
	v_mul_f64 v[210:211], v[130:131], v[195:196]
	v_mul_f64 v[195:196], v[128:129], v[195:196]
	s_waitcnt vmcnt(7)
	v_mul_f64 v[212:213], v[138:139], v[199:200]
	v_mul_f64 v[199:200], v[136:137], v[199:200]
	v_fma_f64 v[140:141], v[140:141], v[189:190], -v[156:157]
	v_fma_f64 v[142:143], v[142:143], v[189:190], v[191:192]
	v_mul_lo_u16 v190, v239, 28
	s_waitcnt vmcnt(6)
	v_mul_f64 v[156:157], v[134:135], v[203:204]
	v_mul_f64 v[203:204], v[132:133], v[203:204]
	v_sub_nc_u16 v191, v167, v243
	v_lshrrev_b32_e32 v189, 17, v238
	v_sub_nc_u16 v190, v166, v190
	v_mul_lo_u16 v238, v241, 28
	v_mul_lo_u16 v243, v242, 28
	v_lshlrev_b32_sdwa v245, v163, v191 dst_sel:DWORD dst_unused:UNUSED_PAD src0_sel:DWORD src1_sel:WORD_0
	v_lshlrev_b32_sdwa v246, v163, v190 dst_sel:DWORD dst_unused:UNUSED_PAD src0_sel:DWORD src1_sel:WORD_0
	v_fma_f64 v[128:129], v[128:129], v[193:194], -v[210:211]
	s_waitcnt vmcnt(5)
	v_mul_f64 v[210:211], v[126:127], v[207:208]
	v_mul_f64 v[207:208], v[124:125], v[207:208]
	v_fma_f64 v[130:131], v[130:131], v[193:194], v[195:196]
	v_fma_f64 v[136:137], v[136:137], v[197:198], -v[212:213]
	v_fma_f64 v[138:139], v[138:139], v[197:198], v[199:200]
	global_load_dwordx4 v[190:193], v245, s[12:13] offset:384
	s_waitcnt vmcnt(5)
	v_mul_f64 v[212:213], v[122:123], v[218:219]
	v_mul_f64 v[218:219], v[120:121], v[218:219]
	global_load_dwordx4 v[194:197], v246, s[12:13] offset:384
	v_mul_lo_u16 v198, v237, 28
	v_fma_f64 v[132:133], v[132:133], v[201:202], -v[156:157]
	v_mul_lo_u16 v200, v189, 28
	s_waitcnt vmcnt(5)
	v_mul_f64 v[156:157], v[118:119], v[222:223]
	v_mul_f64 v[222:223], v[116:117], v[222:223]
	v_fma_f64 v[134:135], v[134:135], v[201:202], v[203:204]
	v_sub_nc_u16 v199, v165, v238
	v_sub_nc_u16 v201, v164, v243
	;; [unrolled: 1-line block ×5, first 2 shown]
	v_lshlrev_b32_sdwa v238, v163, v199 dst_sel:DWORD dst_unused:UNUSED_PAD src0_sel:DWORD src1_sel:WORD_0
	v_lshlrev_b32_sdwa v243, v163, v201 dst_sel:DWORD dst_unused:UNUSED_PAD src0_sel:DWORD src1_sel:WORD_0
	v_fma_f64 v[210:211], v[124:125], v[205:206], -v[210:211]
	v_fma_f64 v[206:207], v[126:127], v[205:206], v[207:208]
	v_lshlrev_b32_sdwa v208, v163, v202 dst_sel:DWORD dst_unused:UNUSED_PAD src0_sel:DWORD src1_sel:WORD_0
	v_lshlrev_b32_sdwa v244, v163, v203 dst_sel:DWORD dst_unused:UNUSED_PAD src0_sel:DWORD src1_sel:WORD_0
	;; [unrolled: 1-line block ×3, first 2 shown]
	s_clause 0x1
	global_load_dwordx4 v[124:127], v238, s[12:13] offset:384
	global_load_dwordx4 v[198:201], v243, s[12:13] offset:384
	v_fma_f64 v[212:213], v[120:121], v[216:217], -v[212:213]
	v_fma_f64 v[216:217], v[122:123], v[216:217], v[218:219]
	s_clause 0x1
	global_load_dwordx4 v[120:123], v208, s[12:13] offset:384
	global_load_dwordx4 v[202:205], v244, s[12:13] offset:384
	v_fma_f64 v[156:157], v[116:117], v[220:221], -v[156:157]
	v_fma_f64 v[218:219], v[118:119], v[220:221], v[222:223]
	global_load_dwordx4 v[116:119], v247, s[12:13] offset:384
	s_waitcnt vmcnt(0) lgkmcnt(0)
	s_barrier
	buffer_gl0_inv
	v_mul_f64 v[220:221], v[114:115], v[226:227]
	v_mul_f64 v[222:223], v[112:113], v[226:227]
	;; [unrolled: 1-line block ×3, first 2 shown]
	v_fma_f64 v[220:221], v[112:113], v[224:225], -v[220:221]
	v_fma_f64 v[222:223], v[114:115], v[224:225], v[222:223]
	v_mul_f64 v[113:114], v[108:109], v[230:231]
	v_mul_u32_u24_e32 v115, 0x380, v173
	v_lshlrev_b32_e32 v112, 2, v148
	v_mul_f64 v[230:231], v[104:105], v[234:235]
	v_mul_f64 v[224:225], v[106:107], v[234:235]
	v_fma_f64 v[226:227], v[108:109], v[228:229], -v[226:227]
	v_lshlrev_b32_e32 v109, 2, v160
	v_lshlrev_b32_e32 v108, 2, v161
	v_fma_f64 v[228:229], v[110:111], v[228:229], v[113:114]
	v_cndmask_b32_e64 v111, 0, 0x380, s1
	v_lshlrev_b32_e32 v113, 4, v169
	v_fma_f64 v[230:231], v[106:107], v[232:233], v[230:231]
	v_fma_f64 v[224:225], v[104:105], v[232:233], -v[224:225]
	v_add3_u32 v233, 0, v115, v178
	v_mov_b32_e32 v106, 0x380
	v_add3_u32 v107, 0, v111, v113
	v_mul_u32_u24_e32 v111, 0x380, v177
	v_mul_u32_u24_e32 v113, 0x380, v174
	;; [unrolled: 1-line block ×4, first 2 shown]
	v_mul_u32_u24_sdwa v181, v183, v106 dst_sel:DWORD dst_unused:UNUSED_PAD src0_sel:WORD_0 src1_sel:DWORD
	v_add3_u32 v111, 0, v111, v172
	v_add3_u32 v232, 0, v113, v175
	;; [unrolled: 1-line block ×4, first 2 shown]
	v_mul_u32_u24_sdwa v183, v185, v106 dst_sel:DWORD dst_unused:UNUSED_PAD src0_sel:WORD_0 src1_sel:DWORD
	v_mul_u32_u24_sdwa v184, v187, v106 dst_sel:DWORD dst_unused:UNUSED_PAD src0_sel:WORD_0 src1_sel:DWORD
	v_add3_u32 v248, 0, v181, v182
	v_mul_u32_u24_e32 v179, 0x380, v240
	v_mul_u32_u24_e32 v180, 0x380, v239
	;; [unrolled: 1-line block ×4, first 2 shown]
	v_add3_u32 v239, 0, v183, v171
	v_add3_u32 v240, 0, v184, v176
	;; [unrolled: 1-line block ×6, first 2 shown]
	v_mul_u32_u24_e32 v115, 0x380, v236
	v_lshlrev_b32_e32 v110, 2, v154
	v_lshlrev_b32_e32 v105, 2, v159
	;; [unrolled: 1-line block ×4, first 2 shown]
	v_mul_i32_i24_e32 v106, 0xffffffd0, v149
	v_mul_f64 v[113:114], v[102:103], v[192:193]
	v_mul_f64 v[172:173], v[100:101], v[192:193]
	;; [unrolled: 1-line block ×7, first 2 shown]
	v_fma_f64 v[183:184], v[100:101], v[190:191], -v[113:114]
	v_fma_f64 v[101:102], v[102:103], v[190:191], v[172:173]
	v_mul_f64 v[113:114], v[80:81], v[200:201]
	v_mul_f64 v[171:172], v[86:87], v[122:123]
	;; [unrolled: 1-line block ×4, first 2 shown]
	v_fma_f64 v[173:174], v[96:97], v[194:195], -v[174:175]
	v_fma_f64 v[175:176], v[98:99], v[194:195], v[177:178]
	v_mul_f64 v[97:98], v[92:93], v[204:205]
	v_mul_f64 v[99:100], v[90:91], v[118:119]
	v_mul_f64 v[118:119], v[88:89], v[118:119]
	v_mul_u32_u24_e32 v177, 0x380, v237
	v_mul_u32_u24_e32 v178, 0x380, v189
	v_add3_u32 v200, 0, v115, v208
	v_add_nc_u32_e32 v96, 0x3b8, v148
	v_mul_u32_u24_e32 v103, 0x380, v242
	v_add3_u32 v201, 0, v177, v244
	v_add3_u32 v204, 0, v178, v247
	v_fma_f64 v[177:178], v[76:77], v[124:125], -v[179:180]
	v_fma_f64 v[179:180], v[78:79], v[124:125], v[126:127]
	v_fma_f64 v[181:182], v[80:81], v[198:199], -v[181:182]
	v_add_f64 v[76:77], v[72:73], -v[140:141]
	v_add_f64 v[78:79], v[74:75], -v[142:143]
	v_fma_f64 v[187:188], v[82:83], v[198:199], v[113:114]
	v_fma_f64 v[189:190], v[84:85], v[120:121], -v[171:172]
	v_fma_f64 v[191:192], v[86:87], v[120:121], v[122:123]
	v_fma_f64 v[185:186], v[92:93], v[202:203], -v[185:186]
	v_add_f64 v[113:114], v[8:9], -v[156:157]
	v_add_f64 v[121:122], v[16:17], -v[226:227]
	v_fma_f64 v[193:194], v[94:95], v[202:203], v[97:98]
	v_fma_f64 v[195:196], v[88:89], v[116:117], -v[99:100]
	v_fma_f64 v[197:198], v[90:91], v[116:117], v[118:119]
	v_add_f64 v[115:116], v[10:11], -v[218:219]
	v_add_f64 v[117:118], v[12:13], -v[220:221]
	;; [unrolled: 1-line block ×30, first 2 shown]
	v_fma_f64 v[72:73], v[72:73], 2.0, -v[76:77]
	v_fma_f64 v[74:75], v[74:75], 2.0, -v[78:79]
	;; [unrolled: 1-line block ×24, first 2 shown]
	v_add3_u32 v103, 0, v103, v243
	ds_write_b128 v107, v[76:79] offset:448
	v_fma_f64 v[40:41], v[40:41], 2.0, -v[137:138]
	v_fma_f64 v[42:43], v[42:43], 2.0, -v[139:140]
	;; [unrolled: 1-line block ×10, first 2 shown]
	ds_write_b128 v107, v[72:75]
	ds_write_b128 v248, v[113:116] offset:448
	ds_write_b128 v248, v[8:11]
	ds_write_b128 v239, v[12:15]
	ds_write_b128 v239, v[117:120] offset:448
	ds_write_b128 v240, v[16:19]
	ds_write_b128 v240, v[121:124] offset:448
	;; [unrolled: 2-line block ×15, first 2 shown]
	s_and_saveexec_b32 s1, s0
	s_cbranch_execz .LBB0_19
; %bb.18:
	v_lshrrev_b16 v8, 2, v96
	v_mul_u32_u24_sdwa v8, v8, v155 dst_sel:DWORD dst_unused:UNUSED_PAD src0_sel:WORD_0 src1_sel:DWORD
	v_lshrrev_b32_e32 v8, 17, v8
	v_mul_lo_u16 v8, v8, 28
	v_sub_nc_u16 v8, v96, v8
	v_lshlrev_b32_sdwa v14, v163, v8 dst_sel:DWORD dst_unused:UNUSED_PAD src0_sel:DWORD src1_sel:WORD_0
	global_load_dwordx4 v[8:11], v14, s[12:13] offset:384
	s_waitcnt vmcnt(0)
	v_mul_f64 v[12:13], v[0:1], v[10:11]
	v_mul_f64 v[10:11], v[2:3], v[10:11]
	v_fma_f64 v[2:3], v[2:3], v[8:9], v[12:13]
	v_fma_f64 v[0:1], v[0:1], v[8:9], -v[10:11]
	v_add_nc_u32_e32 v8, 0, v14
	v_add_f64 v[2:3], v[6:7], -v[2:3]
	v_add_f64 v[0:1], v[4:5], -v[0:1]
	v_fma_f64 v[6:7], v[6:7], 2.0, -v[2:3]
	v_fma_f64 v[4:5], v[4:5], 2.0, -v[0:1]
	ds_write_b128 v8, v[4:7] offset:30464
	ds_write_b128 v8, v[0:3] offset:30912
.LBB0_19:
	s_or_b32 exec_lo, exec_lo, s1
	v_mul_u32_u24_e32 v0, 6, v148
	s_waitcnt lgkmcnt(0)
	s_barrier
	buffer_gl0_inv
	s_mov_b32 s4, 0xaaaaaaaa
	v_lshlrev_b32_e32 v20, 4, v0
	s_mov_b32 s5, 0xbff2aaaa
	s_mov_b32 s14, 0x429ad128
	s_mov_b32 s15, 0x3febfeb5
	s_mov_b32 s6, 0x37c3f68c
	s_clause 0x1
	global_load_dwordx4 v[0:3], v20, s[12:13] offset:832
	global_load_dwordx4 v[4:7], v20, s[12:13] offset:848
	buffer_load_dword v8, off, s[28:31], 0 offset:32 ; 4-byte Folded Reload
	s_mov_b32 s22, 0x37e14327
	s_mov_b32 s7, 0x3fdc38aa
	;; [unrolled: 1-line block ×9, first 2 shown]
	s_waitcnt vmcnt(0)
	v_add_nc_u32_e32 v103, v8, v106
	ds_read_b128 v[8:11], v103
	ds_read_b128 v[12:15], v209 offset:5376
	ds_read_b128 v[193:196], v209
	s_waitcnt lgkmcnt(1)
	v_mul_f64 v[21:22], v[14:15], v[2:3]
	v_mul_f64 v[16:17], v[10:11], v[2:3]
	;; [unrolled: 1-line block ×4, first 2 shown]
	v_fma_f64 v[70:71], v[12:13], v[0:1], -v[21:22]
	v_fma_f64 v[119:120], v[8:9], v[0:1], -v[16:17]
	v_fma_f64 v[117:118], v[10:11], v[0:1], v[18:19]
	v_fma_f64 v[68:69], v[14:15], v[0:1], v[2:3]
	ds_read_b128 v[0:3], v209 offset:8960
	ds_read_b128 v[8:11], v209 offset:8064
	s_waitcnt lgkmcnt(1)
	v_mul_f64 v[12:13], v[2:3], v[6:7]
	v_fma_f64 v[131:132], v[0:1], v[4:5], -v[12:13]
	v_mul_f64 v[0:1], v[0:1], v[6:7]
	v_fma_f64 v[129:130], v[2:3], v[4:5], v[0:1]
	ds_read_b128 v[0:3], v209 offset:9856
	ds_read_b128 v[12:15], v209 offset:10752
	s_waitcnt lgkmcnt(1)
	v_mul_f64 v[16:17], v[2:3], v[6:7]
	v_fma_f64 v[74:75], v[0:1], v[4:5], -v[16:17]
	v_mul_f64 v[0:1], v[0:1], v[6:7]
	v_fma_f64 v[72:73], v[2:3], v[4:5], v[0:1]
	s_clause 0x1
	global_load_dwordx4 v[0:3], v20, s[12:13] offset:864
	global_load_dwordx4 v[4:7], v20, s[12:13] offset:880
	ds_read_b128 v[16:19], v209 offset:13440
	ds_read_b128 v[21:24], v209 offset:14336
	s_waitcnt vmcnt(1) lgkmcnt(1)
	v_mul_f64 v[25:26], v[18:19], v[2:3]
	v_fma_f64 v[135:136], v[16:17], v[0:1], -v[25:26]
	v_mul_f64 v[16:17], v[16:17], v[2:3]
	v_fma_f64 v[133:134], v[18:19], v[0:1], v[16:17]
	s_waitcnt lgkmcnt(0)
	v_mul_f64 v[16:17], v[23:24], v[2:3]
	v_mul_f64 v[2:3], v[21:22], v[2:3]
	v_fma_f64 v[78:79], v[21:22], v[0:1], -v[16:17]
	v_fma_f64 v[76:77], v[23:24], v[0:1], v[2:3]
	ds_read_b128 v[0:3], v209 offset:17920
	ds_read_b128 v[16:19], v209 offset:17024
	s_waitcnt vmcnt(0) lgkmcnt(1)
	v_mul_f64 v[21:22], v[2:3], v[6:7]
	v_fma_f64 v[139:140], v[0:1], v[4:5], -v[21:22]
	v_mul_f64 v[0:1], v[0:1], v[6:7]
	v_fma_f64 v[137:138], v[2:3], v[4:5], v[0:1]
	ds_read_b128 v[0:3], v209 offset:18816
	ds_read_b128 v[44:47], v209 offset:19712
	s_waitcnt lgkmcnt(1)
	v_mul_f64 v[21:22], v[2:3], v[6:7]
	v_add_f64 v[183:184], v[133:134], v[137:138]
	v_fma_f64 v[82:83], v[0:1], v[4:5], -v[21:22]
	v_mul_f64 v[0:1], v[0:1], v[6:7]
	v_fma_f64 v[80:81], v[2:3], v[4:5], v[0:1]
	s_clause 0x1
	global_load_dwordx4 v[0:3], v20, s[12:13] offset:896
	global_load_dwordx4 v[4:7], v20, s[12:13] offset:912
	ds_read_b128 v[20:23], v209 offset:22400
	ds_read_b128 v[24:27], v209 offset:23296
	v_add_f64 v[201:202], v[76:77], v[80:81]
	v_add_f64 v[76:77], v[80:81], -v[76:77]
	s_waitcnt vmcnt(1) lgkmcnt(1)
	v_mul_f64 v[28:29], v[22:23], v[2:3]
	v_fma_f64 v[171:172], v[20:21], v[0:1], -v[28:29]
	v_mul_f64 v[20:21], v[20:21], v[2:3]
	v_add_f64 v[185:186], v[131:132], v[171:172]
	v_fma_f64 v[141:142], v[22:23], v[0:1], v[20:21]
	s_waitcnt lgkmcnt(0)
	v_mul_f64 v[20:21], v[26:27], v[2:3]
	v_mul_f64 v[2:3], v[24:25], v[2:3]
	v_add_f64 v[187:188], v[129:130], v[141:142]
	v_fma_f64 v[86:87], v[24:25], v[0:1], -v[20:21]
	v_fma_f64 v[84:85], v[26:27], v[0:1], v[2:3]
	ds_read_b128 v[0:3], v209 offset:26880
	ds_read_b128 v[38:41], v209 offset:25984
	s_waitcnt vmcnt(0) lgkmcnt(1)
	v_mul_f64 v[20:21], v[2:3], v[6:7]
	v_add_f64 v[197:198], v[74:75], v[86:87]
	v_add_f64 v[203:204], v[72:73], v[84:85]
	v_add_f64 v[74:75], v[74:75], -v[86:87]
	v_fma_f64 v[175:176], v[0:1], v[4:5], -v[20:21]
	v_mul_f64 v[0:1], v[0:1], v[6:7]
	v_fma_f64 v[173:174], v[2:3], v[4:5], v[0:1]
	ds_read_b128 v[0:3], v209 offset:27776
	ds_read_b128 v[48:51], v209 offset:28672
	s_waitcnt lgkmcnt(1)
	v_mul_f64 v[20:21], v[2:3], v[6:7]
	v_add_f64 v[181:182], v[117:118], v[173:174]
	v_add_f64 v[117:118], v[117:118], -v[173:174]
	v_fma_f64 v[97:98], v[0:1], v[4:5], -v[20:21]
	v_mul_f64 v[0:1], v[0:1], v[6:7]
	v_fma_f64 v[92:93], v[2:3], v[4:5], v[0:1]
	v_lshrrev_b16 v0, 3, v159
	v_mov_b32_e32 v1, 0x2493
	v_mul_u32_u24_sdwa v0, v0, v1 dst_sel:DWORD dst_unused:UNUSED_PAD src0_sel:WORD_0 src1_sel:DWORD
	v_lshrrev_b32_e32 v0, 16, v0
	v_mul_lo_u16 v0, v0, 56
	v_sub_nc_u16 v0, v159, v0
	v_add_f64 v[199:200], v[68:69], v[92:93]
	v_add_f64 v[80:81], v[68:69], -v[92:93]
	v_and_b32_e32 v111, 0xffff, v0
	v_mul_u32_u24_e32 v0, 6, v111
	v_lshlrev_b32_e32 v36, 4, v0
	s_clause 0x1
	global_load_dwordx4 v[0:3], v36, s[12:13] offset:832
	global_load_dwordx4 v[4:7], v36, s[12:13] offset:848
	v_add_f64 v[92:93], v[203:204], -v[199:200]
	s_waitcnt vmcnt(1)
	v_mul_f64 v[20:21], v[10:11], v[2:3]
	v_mul_f64 v[2:3], v[8:9], v[2:3]
	v_fma_f64 v[20:21], v[8:9], v[0:1], -v[20:21]
	v_fma_f64 v[22:23], v[10:11], v[0:1], v[2:3]
	ds_read_b128 v[0:3], v209 offset:12544
	ds_read_b128 v[8:11], v209 offset:11648
	s_waitcnt vmcnt(0) lgkmcnt(1)
	v_mul_f64 v[24:25], v[2:3], v[6:7]
	v_fma_f64 v[24:25], v[0:1], v[4:5], -v[24:25]
	v_mul_f64 v[0:1], v[0:1], v[6:7]
	v_fma_f64 v[28:29], v[2:3], v[4:5], v[0:1]
	s_clause 0x1
	global_load_dwordx4 v[0:3], v36, s[12:13] offset:864
	global_load_dwordx4 v[4:7], v36, s[12:13] offset:880
	s_waitcnt vmcnt(1)
	v_mul_f64 v[26:27], v[18:19], v[2:3]
	v_mul_f64 v[2:3], v[16:17], v[2:3]
	v_fma_f64 v[26:27], v[16:17], v[0:1], -v[26:27]
	v_fma_f64 v[30:31], v[18:19], v[0:1], v[2:3]
	ds_read_b128 v[0:3], v209 offset:21504
	ds_read_b128 v[16:19], v209 offset:20608
	s_waitcnt vmcnt(0) lgkmcnt(1)
	v_mul_f64 v[32:33], v[2:3], v[6:7]
	v_fma_f64 v[32:33], v[0:1], v[4:5], -v[32:33]
	v_mul_f64 v[0:1], v[0:1], v[6:7]
	v_fma_f64 v[34:35], v[2:3], v[4:5], v[0:1]
	s_clause 0x1
	global_load_dwordx4 v[0:3], v36, s[12:13] offset:896
	global_load_dwordx4 v[4:7], v36, s[12:13] offset:912
	s_waitcnt vmcnt(1)
	v_mul_f64 v[36:37], v[40:41], v[2:3]
	v_mul_f64 v[2:3], v[38:39], v[2:3]
	v_fma_f64 v[36:37], v[38:39], v[0:1], -v[36:37]
	v_fma_f64 v[38:39], v[40:41], v[0:1], v[2:3]
	ds_read_b128 v[0:3], v209 offset:30464
	ds_read_b128 v[177:180], v209 offset:29568
	s_clause 0x1
	buffer_load_dword v162, off, s[28:31], 0 offset:8
	buffer_load_dword v163, off, s[28:31], 0 offset:12
	s_waitcnt vmcnt(2) lgkmcnt(1)
	v_mul_f64 v[40:41], v[2:3], v[6:7]
	v_fma_f64 v[40:41], v[0:1], v[4:5], -v[40:41]
	v_mul_f64 v[0:1], v[0:1], v[6:7]
	v_fma_f64 v[42:43], v[2:3], v[4:5], v[0:1]
	s_waitcnt vmcnt(1)
	v_lshrrev_b16 v0, 3, v162
	v_and_b32_e32 v0, 31, v0
	v_mul_lo_u16 v0, v0, 37
	v_lshrrev_b16 v0, 8, v0
	v_mul_lo_u16 v0, v0, 56
	v_sub_nc_u16 v0, v162, v0
	v_and_b32_e32 v149, 0xff, v0
	v_mul_u32_u24_e32 v0, 6, v149
	v_lshlrev_b32_e32 v64, 4, v0
	s_clause 0x1
	global_load_dwordx4 v[0:3], v64, s[12:13] offset:832
	global_load_dwordx4 v[4:7], v64, s[12:13] offset:848
	ds_read_b128 v[52:55], v209 offset:6272
	ds_read_b128 v[56:59], v209 offset:7168
	s_waitcnt vmcnt(1) lgkmcnt(1)
	v_mul_f64 v[60:61], v[54:55], v[2:3]
	v_mul_f64 v[2:3], v[52:53], v[2:3]
	v_fma_f64 v[90:91], v[52:53], v[0:1], -v[60:61]
	v_fma_f64 v[88:89], v[54:55], v[0:1], v[2:3]
	s_waitcnt vmcnt(0)
	v_mul_f64 v[0:1], v[14:15], v[6:7]
	v_fma_f64 v[99:100], v[12:13], v[4:5], -v[0:1]
	v_mul_f64 v[0:1], v[12:13], v[6:7]
	v_fma_f64 v[94:95], v[14:15], v[4:5], v[0:1]
	s_clause 0x1
	global_load_dwordx4 v[0:3], v64, s[12:13] offset:864
	global_load_dwordx4 v[4:7], v64, s[12:13] offset:880
	ds_read_b128 v[12:15], v209 offset:15232
	ds_read_b128 v[60:63], v209 offset:16128
	s_waitcnt vmcnt(1) lgkmcnt(1)
	v_mul_f64 v[52:53], v[14:15], v[2:3]
	v_mul_f64 v[2:3], v[12:13], v[2:3]
	v_fma_f64 v[106:107], v[12:13], v[0:1], -v[52:53]
	v_fma_f64 v[101:102], v[14:15], v[0:1], v[2:3]
	s_waitcnt vmcnt(0)
	v_mul_f64 v[0:1], v[46:47], v[6:7]
	v_fma_f64 v[115:116], v[44:45], v[4:5], -v[0:1]
	v_mul_f64 v[0:1], v[44:45], v[6:7]
	v_add_f64 v[212:213], v[106:107], v[115:116]
	v_fma_f64 v[113:114], v[46:47], v[4:5], v[0:1]
	s_clause 0x1
	global_load_dwordx4 v[0:3], v64, s[12:13] offset:896
	global_load_dwordx4 v[4:7], v64, s[12:13] offset:912
	ds_read_b128 v[12:15], v209 offset:24192
	ds_read_b128 v[64:67], v209 offset:25088
	v_add_f64 v[222:223], v[101:102], v[113:114]
	v_add_f64 v[101:102], v[113:114], -v[101:102]
	s_waitcnt vmcnt(1) lgkmcnt(1)
	v_mul_f64 v[44:45], v[14:15], v[2:3]
	v_mul_f64 v[2:3], v[12:13], v[2:3]
	v_fma_f64 v[123:124], v[12:13], v[0:1], -v[44:45]
	v_fma_f64 v[121:122], v[14:15], v[0:1], v[2:3]
	s_waitcnt vmcnt(0)
	v_mul_f64 v[0:1], v[50:51], v[6:7]
	v_add_f64 v[210:211], v[99:100], v[123:124]
	v_add_f64 v[220:221], v[94:95], v[121:122]
	v_fma_f64 v[127:128], v[48:49], v[4:5], -v[0:1]
	v_mul_f64 v[0:1], v[48:49], v[6:7]
	v_fma_f64 v[125:126], v[50:51], v[4:5], v[0:1]
	v_lshrrev_b16 v0, 3, v161
	v_and_b32_e32 v0, 31, v0
	v_mul_lo_u16 v0, v0, 37
	v_lshrrev_b16 v0, 8, v0
	v_mul_lo_u16 v0, v0, 56
	v_add_f64 v[218:219], v[88:89], v[125:126]
	v_sub_nc_u16 v0, v161, v0
	v_and_b32_e32 v143, 0xff, v0
	v_mul_u32_u24_e32 v0, 6, v143
	v_lshlrev_b32_e32 v14, 4, v0
	s_clause 0x1
	global_load_dwordx4 v[0:3], v14, s[12:13] offset:832
	global_load_dwordx4 v[4:7], v14, s[12:13] offset:848
	s_waitcnt vmcnt(1)
	v_mul_f64 v[12:13], v[58:59], v[2:3]
	v_mul_f64 v[2:3], v[56:57], v[2:3]
	v_fma_f64 v[46:47], v[56:57], v[0:1], -v[12:13]
	v_fma_f64 v[44:45], v[58:59], v[0:1], v[2:3]
	s_waitcnt vmcnt(0)
	v_mul_f64 v[0:1], v[10:11], v[6:7]
	v_fma_f64 v[50:51], v[8:9], v[4:5], -v[0:1]
	v_mul_f64 v[0:1], v[8:9], v[6:7]
	v_fma_f64 v[48:49], v[10:11], v[4:5], v[0:1]
	s_clause 0x1
	global_load_dwordx4 v[0:3], v14, s[12:13] offset:864
	global_load_dwordx4 v[4:7], v14, s[12:13] offset:880
	s_waitcnt vmcnt(1)
	v_mul_f64 v[8:9], v[62:63], v[2:3]
	v_mul_f64 v[2:3], v[60:61], v[2:3]
	v_fma_f64 v[54:55], v[60:61], v[0:1], -v[8:9]
	v_fma_f64 v[52:53], v[62:63], v[0:1], v[2:3]
	s_waitcnt vmcnt(0)
	v_mul_f64 v[0:1], v[18:19], v[6:7]
	v_fma_f64 v[58:59], v[16:17], v[4:5], -v[0:1]
	v_mul_f64 v[0:1], v[16:17], v[6:7]
	v_fma_f64 v[56:57], v[18:19], v[4:5], v[0:1]
	s_clause 0x1
	global_load_dwordx4 v[0:3], v14, s[12:13] offset:896
	global_load_dwordx4 v[4:7], v14, s[12:13] offset:912
	s_waitcnt vmcnt(1) lgkmcnt(0)
	v_mul_f64 v[8:9], v[66:67], v[2:3]
	v_mul_f64 v[2:3], v[64:65], v[2:3]
	v_fma_f64 v[62:63], v[64:65], v[0:1], -v[8:9]
	v_fma_f64 v[60:61], v[66:67], v[0:1], v[2:3]
	s_waitcnt vmcnt(0)
	v_mul_f64 v[0:1], v[179:180], v[6:7]
	v_fma_f64 v[66:67], v[177:178], v[4:5], -v[0:1]
	v_mul_f64 v[0:1], v[177:178], v[6:7]
	v_add_f64 v[177:178], v[119:120], v[175:176]
	v_add_f64 v[119:120], v[119:120], -v[175:176]
	v_fma_f64 v[64:65], v[179:180], v[4:5], v[0:1]
	v_add_f64 v[179:180], v[135:136], v[139:140]
	v_add_f64 v[0:1], v[185:186], v[177:178]
	;; [unrolled: 1-line block ×10, first 2 shown]
	v_fma_f64 v[155:156], v[189:190], s[4:5], v[0:1]
	v_add_f64 v[78:79], v[82:83], -v[78:79]
	v_add_f64 v[82:83], v[70:71], -v[97:98]
	;; [unrolled: 1-line block ×5, first 2 shown]
	v_fma_f64 v[189:190], v[191:192], s[4:5], v[2:3]
	v_add_f64 v[86:87], v[195:196], -v[197:198]
	v_add_f64 v[205:206], v[195:196], v[4:5]
	v_add_f64 v[4:5], v[203:204], v[199:200]
	v_add_f64 v[72:73], v[78:79], -v[74:75]
	v_add_f64 v[68:69], v[78:79], v[74:75]
	v_add_f64 v[207:208], v[201:202], v[4:5]
	ds_read_b128 v[4:7], v252
	ds_read_b128 v[12:15], v253
	s_waitcnt lgkmcnt(1)
	v_add_f64 v[16:17], v[4:5], v[205:206]
	v_add_f64 v[18:19], v[6:7], v[207:208]
	ds_read_b128 v[8:11], v254
	ds_read_b128 v[4:7], v255
	s_waitcnt lgkmcnt(0)
	s_barrier
	buffer_gl0_inv
	ds_write_b128 v209, v[0:3]
	v_fma_f64 v[191:192], v[205:206], s[4:5], v[16:17]
	v_fma_f64 v[205:206], v[207:208], s[4:5], v[18:19]
	v_add_f64 v[207:208], v[90:91], v[127:128]
	ds_write_b128 v209, v[16:19] offset:6272
	v_add_f64 v[0:1], v[210:211], v[207:208]
	v_add_f64 v[113:114], v[210:211], -v[207:208]
	v_add_f64 v[216:217], v[212:213], v[0:1]
	v_add_f64 v[0:1], v[220:221], v[218:219]
	;; [unrolled: 1-line block ×4, first 2 shown]
	v_add_f64 v[12:13], v[131:132], -v[171:172]
	v_add_f64 v[131:132], v[139:140], -v[135:136]
	;; [unrolled: 1-line block ×4, first 2 shown]
	v_add_f64 v[2:3], v[14:15], v[224:225]
	v_add_f64 v[14:15], v[129:130], -v[141:142]
	v_add_f64 v[129:130], v[137:138], -v[133:134]
	;; [unrolled: 1-line block ×4, first 2 shown]
	v_add_f64 v[16:17], v[131:132], v[12:13]
	v_add_f64 v[141:142], v[12:13], -v[119:120]
	v_add_f64 v[133:134], v[185:186], -v[177:178]
	;; [unrolled: 1-line block ×7, first 2 shown]
	v_mul_f64 v[187:188], v[18:19], s[16:17]
	v_add_f64 v[12:13], v[129:130], v[14:15]
	v_add_f64 v[175:176], v[16:17], v[119:120]
	v_add_f64 v[183:184], v[117:118], -v[129:130]
	v_mul_f64 v[14:15], v[139:140], s[8:9]
	v_mul_f64 v[119:120], v[173:174], s[14:15]
	;; [unrolled: 1-line block ×3, first 2 shown]
	v_fma_f64 v[16:17], v[141:142], s[14:15], -v[187:188]
	v_add_f64 v[185:186], v[12:13], v[117:118]
	v_mul_f64 v[117:118], v[141:142], s[14:15]
	v_mul_f64 v[141:142], v[177:178], s[22:23]
	;; [unrolled: 1-line block ×3, first 2 shown]
	v_fma_f64 v[14:15], v[137:138], s[18:19], -v[14:15]
	v_mul_f64 v[177:178], v[72:73], s[16:17]
	v_fma_f64 v[119:120], v[183:184], s[26:27], -v[119:120]
	v_fma_f64 v[18:19], v[175:176], s[6:7], v[16:17]
	v_fma_f64 v[16:17], v[173:174], s[14:15], -v[171:172]
	v_mul_f64 v[173:174], v[179:180], s[22:23]
	v_fma_f64 v[117:118], v[181:182], s[26:27], -v[117:118]
	v_fma_f64 v[129:130], v[133:134], s[24:25], -v[141:142]
	;; [unrolled: 1-line block ×3, first 2 shown]
	v_fma_f64 v[135:136], v[135:136], s[8:9], v[141:142]
	v_add_f64 v[228:229], v[14:15], v[189:190]
	v_fma_f64 v[16:17], v[185:186], s[6:7], v[16:17]
	v_fma_f64 v[131:132], v[137:138], s[24:25], -v[173:174]
	v_fma_f64 v[133:134], v[175:176], s[6:7], v[117:118]
	v_fma_f64 v[137:138], v[185:186], s[6:7], v[119:120]
	v_add_f64 v[129:130], v[129:130], v[155:156]
	v_fma_f64 v[139:140], v[139:140], s[8:9], v[173:174]
	v_add_f64 v[226:227], v[12:13], v[155:156]
	v_add_f64 v[155:156], v[135:136], v[155:156]
	;; [unrolled: 1-line block ×3, first 2 shown]
	v_mul_f64 v[68:69], v[86:87], s[8:9]
	v_add_f64 v[14:15], v[18:19], v[228:229]
	v_add_f64 v[18:19], v[228:229], -v[18:19]
	v_add_f64 v[131:132], v[131:132], v[189:190]
	v_add_f64 v[117:118], v[137:138], v[129:130]
	v_add_f64 v[129:130], v[129:130], -v[137:138]
	v_fma_f64 v[137:138], v[183:184], s[20:21], v[171:172]
	v_add_f64 v[139:140], v[139:140], v[189:190]
	v_add_f64 v[171:172], v[70:71], -v[80:81]
	v_fma_f64 v[68:69], v[84:85], s[18:19], -v[68:69]
	v_add_f64 v[183:184], v[82:83], -v[78:79]
	v_add_f64 v[12:13], v[226:227], -v[16:17]
	v_add_f64 v[16:17], v[16:17], v[226:227]
	v_add_f64 v[119:120], v[131:132], -v[133:134]
	v_add_f64 v[131:132], v[133:134], v[131:132]
	v_fma_f64 v[133:134], v[181:182], s[20:21], v[187:188]
	v_fma_f64 v[137:138], v[185:186], s[6:7], v[137:138]
	v_add_f64 v[185:186], v[80:81], -v[76:77]
	v_mul_f64 v[78:79], v[171:172], s[14:15]
	v_add_f64 v[179:180], v[68:69], v[191:192]
	v_fma_f64 v[141:142], v[175:176], s[6:7], v[133:134]
	v_add_f64 v[133:134], v[137:138], v[155:156]
	v_add_f64 v[137:138], v[155:156], -v[137:138]
	v_add_f64 v[155:156], v[76:77], -v[70:71]
	v_fma_f64 v[78:79], v[185:186], s[26:27], -v[78:79]
	v_add_f64 v[135:136], v[139:140], -v[141:142]
	v_add_f64 v[139:140], v[141:142], v[139:140]
	v_add_f64 v[141:142], v[74:75], -v[82:83]
	v_add_f64 v[74:75], v[76:77], v[70:71]
	v_mul_f64 v[70:71], v[97:98], s[8:9]
	v_mul_f64 v[155:156], v[155:156], s[16:17]
	ds_write_b128 v209, v[133:136] offset:896
	ds_write_b128 v209, v[117:120] offset:1792
	v_add_f64 v[119:120], v[222:223], -v[220:221]
	v_fma_f64 v[72:73], v[141:142], s[14:15], -v[177:178]
	v_add_f64 v[175:176], v[74:75], v[80:81]
	v_fma_f64 v[70:71], v[92:93], s[18:19], -v[70:71]
	v_mul_f64 v[76:77], v[141:142], s[14:15]
	v_add_f64 v[117:118], v[212:213], -v[210:211]
	v_fma_f64 v[74:75], v[173:174], s[6:7], v[72:73]
	v_fma_f64 v[72:73], v[171:172], s[14:15], -v[155:156]
	v_add_f64 v[181:182], v[70:71], v[205:206]
	v_fma_f64 v[76:77], v[183:184], s[26:27], -v[76:77]
	v_fma_f64 v[72:73], v[175:176], s[6:7], v[72:73]
	v_add_f64 v[70:71], v[74:75], v[181:182]
	v_add_f64 v[74:75], v[181:182], -v[74:75]
	v_add_f64 v[181:182], v[199:200], -v[201:202]
	;; [unrolled: 1-line block ×3, first 2 shown]
	v_add_f64 v[72:73], v[72:73], v[179:180]
	v_add_f64 v[179:180], v[193:194], -v[195:196]
	v_mul_f64 v[171:172], v[181:182], s[22:23]
	v_mul_f64 v[141:142], v[179:180], s[22:23]
	v_fma_f64 v[82:83], v[92:93], s[24:25], -v[171:172]
	v_fma_f64 v[92:93], v[175:176], s[6:7], v[78:79]
	v_fma_f64 v[97:98], v[97:98], s[8:9], v[171:172]
	v_fma_f64 v[80:81], v[84:85], s[24:25], -v[141:142]
	v_fma_f64 v[84:85], v[173:174], s[6:7], v[76:77]
	v_add_f64 v[82:83], v[82:83], v[205:206]
	v_fma_f64 v[86:87], v[86:87], s[8:9], v[141:142]
	v_add_f64 v[97:98], v[97:98], v[205:206]
	v_add_f64 v[80:81], v[80:81], v[191:192]
	v_add_f64 v[78:79], v[82:83], -v[84:85]
	v_add_f64 v[82:83], v[84:85], v[82:83]
	v_fma_f64 v[84:85], v[183:184], s[20:21], v[177:178]
	v_add_f64 v[76:77], v[92:93], v[80:81]
	v_add_f64 v[80:81], v[80:81], -v[92:93]
	v_fma_f64 v[92:93], v[185:186], s[20:21], v[155:156]
	v_add_f64 v[155:156], v[86:87], v[191:192]
	v_fma_f64 v[141:142], v[173:174], s[6:7], v[84:85]
	v_fma_f64 v[92:93], v[175:176], s[6:7], v[92:93]
	v_add_f64 v[86:87], v[97:98], -v[141:142]
	v_add_f64 v[173:174], v[141:142], v[97:98]
	v_add_f64 v[97:98], v[115:116], -v[106:107]
	v_add_f64 v[106:107], v[88:89], -v[125:126]
	;; [unrolled: 1-line block ×3, first 2 shown]
	v_fma_f64 v[141:142], v[216:217], s[4:5], v[0:1]
	v_add_f64 v[84:85], v[92:93], v[155:156]
	v_add_f64 v[171:172], v[155:156], -v[92:93]
	v_add_f64 v[92:93], v[99:100], -v[123:124]
	;; [unrolled: 1-line block ×4, first 2 shown]
	v_fma_f64 v[155:156], v[224:225], s[4:5], v[2:3]
	ds_write_b128 v209, v[12:15] offset:2688
	ds_write_b128 v209, v[16:19] offset:3584
	;; [unrolled: 1-line block ×4, first 2 shown]
	ds_write_b128 v147, v[84:87]
	ds_write_b128 v209, v[76:79] offset:8064
	ds_write_b128 v209, v[68:71] offset:8960
	;; [unrolled: 1-line block ×5, first 2 shown]
	v_lshl_add_u32 v12, v149, 4, 0
	v_add_f64 v[16:17], v[46:47], v[66:67]
	v_add_f64 v[18:19], v[54:55], v[58:59]
	;; [unrolled: 1-line block ×4, first 2 shown]
	v_add_f64 v[94:95], v[97:98], -v[92:93]
	v_add_f64 v[88:89], v[97:98], v[92:93]
	v_add_f64 v[121:122], v[92:93], -v[99:100]
	v_add_f64 v[92:93], v[101:102], v[90:91]
	v_add_f64 v[123:124], v[101:102], -v[90:91]
	v_add_f64 v[125:126], v[90:91], -v[106:107]
	v_mul_f64 v[90:91], v[119:120], s[8:9]
	v_add_f64 v[179:180], v[99:100], -v[97:98]
	v_add_f64 v[101:102], v[106:107], -v[101:102]
	v_add_f64 v[72:73], v[52:53], v[56:57]
	v_add_f64 v[46:47], v[46:47], -v[66:67]
	v_add_f64 v[44:45], v[44:45], -v[64:65]
	v_mul_f64 v[135:136], v[94:95], s[16:17]
	v_add_f64 v[127:128], v[88:89], v[99:100]
	v_mul_f64 v[88:89], v[117:118], s[8:9]
	v_add_f64 v[133:134], v[92:93], v[106:107]
	v_mul_f64 v[123:124], v[123:124], s[16:17]
	v_mul_f64 v[97:98], v[121:122], s[14:15]
	v_fma_f64 v[90:91], v[115:116], s[18:19], -v[90:91]
	v_mul_f64 v[99:100], v[125:126], s[14:15]
	v_fma_f64 v[92:93], v[121:122], s[14:15], -v[135:136]
	v_fma_f64 v[88:89], v[113:114], s[18:19], -v[88:89]
	;; [unrolled: 1-line block ×3, first 2 shown]
	v_add_f64 v[177:178], v[90:91], v[155:156]
	v_fma_f64 v[99:100], v[101:102], s[26:27], -v[99:100]
	v_fma_f64 v[101:102], v[101:102], s[20:21], v[123:124]
	v_fma_f64 v[94:95], v[127:128], s[6:7], v[92:93]
	v_fma_f64 v[92:93], v[125:126], s[14:15], -v[123:124]
	v_add_f64 v[175:176], v[88:89], v[141:142]
	v_fma_f64 v[125:126], v[127:128], s[6:7], v[97:98]
	v_fma_f64 v[101:102], v[133:134], s[6:7], v[101:102]
	v_add_f64 v[90:91], v[94:95], v[177:178]
	v_add_f64 v[94:95], v[177:178], -v[94:95]
	v_add_f64 v[177:178], v[218:219], -v[222:223]
	v_fma_f64 v[92:93], v[133:134], s[6:7], v[92:93]
	v_mul_f64 v[121:122], v[177:178], s[22:23]
	v_add_f64 v[88:89], v[175:176], -v[92:93]
	v_add_f64 v[92:93], v[92:93], v[175:176]
	v_add_f64 v[175:176], v[207:208], -v[212:213]
	v_fma_f64 v[115:116], v[115:116], s[24:25], -v[121:122]
	v_mul_f64 v[106:107], v[175:176], s[22:23]
	v_fma_f64 v[175:176], v[133:134], s[6:7], v[99:100]
	v_add_f64 v[115:116], v[115:116], v[155:156]
	v_fma_f64 v[113:114], v[113:114], s[24:25], -v[106:107]
	v_fma_f64 v[106:107], v[117:118], s[8:9], v[106:107]
	v_fma_f64 v[117:118], v[119:120], s[8:9], v[121:122]
	v_add_f64 v[99:100], v[115:116], -v[125:126]
	v_add_f64 v[115:116], v[125:126], v[115:116]
	v_fma_f64 v[125:126], v[179:180], s[20:21], v[135:136]
	v_add_f64 v[113:114], v[113:114], v[141:142]
	v_add_f64 v[106:107], v[106:107], v[141:142]
	v_fma_f64 v[123:124], v[127:128], s[6:7], v[125:126]
	v_add_f64 v[125:126], v[117:118], v[155:156]
	v_add_f64 v[117:118], v[101:102], v[106:107]
	;; [unrolled: 1-line block ×3, first 2 shown]
	v_add_f64 v[113:114], v[113:114], -v[175:176]
	v_add_f64 v[121:122], v[106:107], -v[101:102]
	v_mov_b32_e32 v106, v170
	v_add_f64 v[119:120], v[125:126], -v[123:124]
	v_add_f64 v[123:124], v[123:124], v[125:126]
	ds_write_b128 v12, v[0:3] offset:12544
	ds_write_b128 v12, v[117:120] offset:13440
	;; [unrolled: 1-line block ×7, first 2 shown]
	v_add_f64 v[12:13], v[50:51], v[62:63]
	v_mov_b32_e32 v113, v170
	v_add_f64 v[0:1], v[12:13], v[16:17]
	v_add_f64 v[14:15], v[18:19], v[0:1]
	;; [unrolled: 1-line block ×5, first 2 shown]
	v_add_f64 v[8:9], v[50:51], -v[62:63]
	v_add_f64 v[50:51], v[58:59], -v[54:55]
	;; [unrolled: 1-line block ×4, first 2 shown]
	v_add_f64 v[2:3], v[10:11], v[74:75]
	v_add_f64 v[10:11], v[48:49], -v[60:61]
	v_add_f64 v[48:49], v[56:57], -v[52:53]
	;; [unrolled: 1-line block ×4, first 2 shown]
	v_add_f64 v[12:13], v[50:51], v[8:9]
	v_add_f64 v[62:63], v[8:9], -v[46:47]
	v_add_f64 v[56:57], v[70:71], -v[68:69]
	;; [unrolled: 1-line block ×4, first 2 shown]
	v_fma_f64 v[78:79], v[14:15], s[4:5], v[0:1]
	v_add_f64 v[50:51], v[46:47], -v[50:51]
	v_fma_f64 v[74:75], v[74:75], s[4:5], v[2:3]
	v_add_f64 v[66:67], v[10:11], -v[44:45]
	v_add_f64 v[64:65], v[48:49], -v[10:11]
	v_mul_f64 v[60:61], v[60:61], s[16:17]
	v_add_f64 v[8:9], v[48:49], v[10:11]
	v_add_f64 v[70:71], v[12:13], v[46:47]
	v_add_f64 v[48:49], v[44:45], -v[48:49]
	v_mul_f64 v[10:11], v[58:59], s[8:9]
	v_mul_f64 v[46:47], v[66:67], s[14:15]
	;; [unrolled: 1-line block ×3, first 2 shown]
	v_fma_f64 v[12:13], v[62:63], s[14:15], -v[60:61]
	v_add_f64 v[76:77], v[8:9], v[44:45]
	v_mul_f64 v[44:45], v[62:63], s[14:15]
	v_mul_f64 v[8:9], v[54:55], s[8:9]
	;; [unrolled: 1-line block ×3, first 2 shown]
	v_fma_f64 v[10:11], v[56:57], s[18:19], -v[10:11]
	v_fma_f64 v[14:15], v[70:71], s[6:7], v[12:13]
	v_fma_f64 v[12:13], v[66:67], s[14:15], -v[64:65]
	v_mul_f64 v[66:67], v[18:19], s[22:23]
	v_fma_f64 v[16:17], v[50:51], s[26:27], -v[44:45]
	v_fma_f64 v[18:19], v[48:49], s[26:27], -v[46:47]
	;; [unrolled: 1-line block ×4, first 2 shown]
	v_fma_f64 v[48:49], v[48:49], s[20:21], v[64:65]
	v_fma_f64 v[50:51], v[50:51], s[20:21], v[60:61]
	v_add_f64 v[82:83], v[10:11], v[74:75]
	v_fma_f64 v[12:13], v[76:77], s[6:7], v[12:13]
	v_fma_f64 v[46:47], v[56:57], s[24:25], -v[66:67]
	v_fma_f64 v[52:53], v[70:71], s[6:7], v[16:17]
	v_fma_f64 v[56:57], v[76:77], s[6:7], v[18:19]
	v_add_f64 v[80:81], v[8:9], v[78:79]
	v_add_f64 v[44:45], v[44:45], v[78:79]
	;; [unrolled: 1-line block ×3, first 2 shown]
	v_add_f64 v[14:15], v[82:83], -v[14:15]
	v_add_f64 v[46:47], v[46:47], v[74:75]
	v_add_f64 v[8:9], v[80:81], -v[12:13]
	v_add_f64 v[16:17], v[56:57], v[44:45]
	v_add_f64 v[44:45], v[44:45], -v[56:57]
	v_fma_f64 v[56:57], v[76:77], s[6:7], v[48:49]
	v_add_f64 v[12:13], v[12:13], v[80:81]
	v_add_f64 v[18:19], v[46:47], -v[52:53]
	v_add_f64 v[46:47], v[52:53], v[46:47]
	v_fma_f64 v[52:53], v[54:55], s[8:9], v[62:63]
	v_fma_f64 v[54:55], v[58:59], s[8:9], v[66:67]
	;; [unrolled: 1-line block ×3, first 2 shown]
	v_add_f64 v[52:53], v[52:53], v[78:79]
	v_add_f64 v[54:55], v[54:55], v[74:75]
	;; [unrolled: 1-line block ×3, first 2 shown]
	v_add_f64 v[50:51], v[54:55], -v[58:59]
	v_add_f64 v[52:53], v[52:53], -v[56:57]
	v_add_f64 v[54:55], v[58:59], v[54:55]
	v_lshl_add_u32 v56, v143, 4, 0
	ds_write_b128 v56, v[0:3] offset:18816
	ds_write_b128 v56, v[48:51] offset:19712
	ds_write_b128 v56, v[16:19] offset:20608
	ds_write_b128 v56, v[8:11] offset:21504
	ds_write_b128 v56, v[12:15] offset:22400
	ds_write_b128 v56, v[44:47] offset:23296
	ds_write_b128 v56, v[52:55] offset:24192
	v_add_f64 v[12:13], v[20:21], v[40:41]
	v_add_f64 v[8:9], v[24:25], v[36:37]
	;; [unrolled: 1-line block ×6, first 2 shown]
	v_add_f64 v[22:23], v[22:23], -v[42:43]
	v_add_f64 v[20:21], v[20:21], -v[40:41]
	v_add_f64 v[0:1], v[8:9], v[12:13]
	v_add_f64 v[10:11], v[14:15], v[0:1]
	;; [unrolled: 1-line block ×5, first 2 shown]
	v_add_f64 v[4:5], v[28:29], -v[38:39]
	v_add_f64 v[28:29], v[34:35], -v[30:31]
	;; [unrolled: 1-line block ×4, first 2 shown]
	v_add_f64 v[2:3], v[6:7], v[46:47]
	v_add_f64 v[6:7], v[24:25], -v[36:37]
	v_add_f64 v[24:25], v[32:33], -v[26:27]
	;; [unrolled: 1-line block ×5, first 2 shown]
	v_add_f64 v[18:19], v[28:29], v[4:5]
	v_add_f64 v[36:37], v[4:5], -v[22:23]
	v_mul_f64 v[4:5], v[30:31], s[8:9]
	v_fma_f64 v[40:41], v[10:11], s[4:5], v[0:1]
	v_add_f64 v[12:13], v[12:13], -v[14:15]
	v_add_f64 v[14:15], v[16:17], -v[44:45]
	v_fma_f64 v[42:43], v[46:47], s[4:5], v[2:3]
	v_add_f64 v[48:49], v[6:7], -v[20:21]
	v_add_f64 v[10:11], v[24:25], v[6:7]
	v_add_f64 v[46:47], v[24:25], -v[6:7]
	s_mov_b32 s4, 0x372fe950
	v_mul_f64 v[38:39], v[8:9], s[16:17]
	v_mul_f64 v[8:9], v[34:35], s[8:9]
	v_add_f64 v[52:53], v[18:19], v[22:23]
	v_fma_f64 v[4:5], v[26:27], s[18:19], -v[4:5]
	v_add_f64 v[22:23], v[22:23], -v[28:29]
	s_mov_b32 s5, 0x3fd3c6ef
	v_mul_f64 v[28:29], v[14:15], s[22:23]
	v_mul_f64 v[14:15], v[48:49], s[14:15]
	v_add_f64 v[50:51], v[10:11], v[20:21]
	v_mul_f64 v[46:47], v[46:47], s[16:17]
	v_add_f64 v[20:21], v[20:21], -v[24:25]
	v_mul_f64 v[24:25], v[12:13], s[22:23]
	v_fma_f64 v[8:9], v[32:33], s[18:19], -v[8:9]
	v_mul_f64 v[12:13], v[36:37], s[14:15]
	v_add_f64 v[10:11], v[4:5], v[40:41]
	v_fma_f64 v[4:5], v[36:37], s[14:15], -v[38:39]
	s_mov_b32 s16, 0x134454ff
	s_mov_b32 s17, 0x3fee6f0e
	v_fma_f64 v[14:15], v[20:21], s[26:27], -v[14:15]
	v_fma_f64 v[16:17], v[26:27], s[24:25], -v[24:25]
	v_add_f64 v[18:19], v[8:9], v[42:43]
	v_fma_f64 v[12:13], v[22:23], s[26:27], -v[12:13]
	v_fma_f64 v[24:25], v[30:31], s[8:9], v[24:25]
	v_fma_f64 v[8:9], v[52:53], s[6:7], v[4:5]
	v_fma_f64 v[4:5], v[48:49], s[14:15], -v[46:47]
	v_fma_f64 v[22:23], v[22:23], s[20:21], v[38:39]
	v_fma_f64 v[20:21], v[20:21], s[20:21], v[46:47]
	s_mov_b32 s15, 0xbfee6f0e
	s_mov_b32 s14, s16
	v_add_f64 v[16:17], v[16:17], v[40:41]
	v_fma_f64 v[26:27], v[52:53], s[6:7], v[12:13]
	v_add_f64 v[24:25], v[24:25], v[40:41]
	v_fma_f64 v[54:55], v[50:51], s[6:7], v[4:5]
	v_add_f64 v[4:5], v[10:11], -v[8:9]
	v_add_f64 v[8:9], v[8:9], v[10:11]
	v_fma_f64 v[30:31], v[50:51], s[6:7], v[20:21]
	v_add_f64 v[12:13], v[26:27], v[16:17]
	v_add_f64 v[16:17], v[16:17], -v[26:27]
	v_fma_f64 v[26:27], v[34:35], s[8:9], v[28:29]
	v_add_f64 v[6:7], v[54:55], v[18:19]
	v_add_f64 v[10:11], v[18:19], -v[54:55]
	v_fma_f64 v[18:19], v[32:33], s[24:25], -v[28:29]
	v_fma_f64 v[28:29], v[52:53], s[6:7], v[22:23]
	v_fma_f64 v[32:33], v[50:51], s[6:7], v[14:15]
	s_mov_b32 s6, 0x4755a5e
	s_mov_b32 s7, 0x3fe2cf23
	;; [unrolled: 1-line block ×4, first 2 shown]
	v_add_f64 v[26:27], v[26:27], v[42:43]
	v_add_f64 v[18:19], v[18:19], v[42:43]
	;; [unrolled: 1-line block ×3, first 2 shown]
	v_add_f64 v[24:25], v[24:25], -v[28:29]
	v_lshl_add_u32 v28, v111, 4, 0
	v_mov_b32_e32 v111, v170
	ds_write_b128 v28, v[0:3] offset:25088
	v_lshlrev_b64 v[0:1], 4, v[112:113]
	v_add_co_u32 v2, s1, s12, v0
	v_add_co_ci_u32_e64 v3, s1, s13, v1, s1
	v_add_f64 v[22:23], v[26:27], -v[30:31]
	v_add_f64 v[26:27], v[30:31], v[26:27]
	v_add_co_u32 v0, s1, 0x1800, v2
	v_add_f64 v[14:15], v[18:19], -v[32:33]
	v_add_f64 v[18:19], v[32:33], v[18:19]
	v_add_co_ci_u32_e64 v1, s1, 0, v3, s1
	ds_write_b128 v28, v[20:23] offset:25984
	ds_write_b128 v28, v[12:15] offset:26880
	ds_write_b128 v28, v[4:7] offset:27776
	ds_write_b128 v28, v[8:11] offset:28672
	ds_write_b128 v28, v[24:27] offset:30464
	ds_write_b128 v28, v[16:19] offset:29568
	s_waitcnt lgkmcnt(0)
	s_barrier
	buffer_gl0_inv
	global_load_dwordx4 v[8:11], v[0:1], off offset:64
	v_add_co_u32 v12, s1, 0x1840, v2
	v_add_co_ci_u32_e64 v13, s1, 0, v3, s1
	s_clause 0x2
	global_load_dwordx4 v[4:7], v[12:13], off offset:16
	global_load_dwordx4 v[0:3], v[12:13], off offset:32
	;; [unrolled: 1-line block ×3, first 2 shown]
	ds_read_b128 v[16:19], v214
	ds_read_b128 v[20:23], v215
	s_waitcnt vmcnt(3) lgkmcnt(1)
	v_mul_f64 v[24:25], v[18:19], v[10:11]
	v_mul_f64 v[10:11], v[16:17], v[10:11]
	v_fma_f64 v[40:41], v[16:17], v[8:9], -v[24:25]
	v_fma_f64 v[42:43], v[18:19], v[8:9], v[10:11]
	ds_read_b128 v[8:11], v209 offset:12544
	ds_read_b128 v[16:19], v209 offset:11648
	s_waitcnt vmcnt(2) lgkmcnt(1)
	v_mul_f64 v[24:25], v[10:11], v[6:7]
	v_mul_f64 v[6:7], v[8:9], v[6:7]
	v_fma_f64 v[44:45], v[8:9], v[4:5], -v[24:25]
	v_fma_f64 v[46:47], v[10:11], v[4:5], v[6:7]
	ds_read_b128 v[4:7], v209 offset:18816
	ds_read_b128 v[8:11], v209 offset:19712
	;; [unrolled: 7-line block ×3, first 2 shown]
	ds_read_b128 v[28:31], v209
	s_waitcnt vmcnt(0) lgkmcnt(2)
	v_mul_f64 v[24:25], v[2:3], v[14:15]
	v_fma_f64 v[52:53], v[0:1], v[12:13], -v[24:25]
	v_mul_f64 v[0:1], v[0:1], v[14:15]
	v_fma_f64 v[54:55], v[2:3], v[12:13], v[0:1]
	v_lshlrev_b64 v[0:1], 4, v[110:111]
	ds_read_b128 v[12:15], v209 offset:7168
	v_mov_b32_e32 v110, v170
	v_add_co_u32 v2, s1, s12, v0
	v_add_co_ci_u32_e64 v3, s1, s13, v1, s1
	v_add_co_u32 v0, s1, 0x1800, v2
	v_add_co_ci_u32_e64 v1, s1, 0, v3, s1
	;; [unrolled: 2-line block ×3, first 2 shown]
	s_clause 0x1
	global_load_dwordx4 v[0:3], v[0:1], off offset:64
	global_load_dwordx4 v[24:27], v[32:33], off offset:48
	s_waitcnt vmcnt(1) lgkmcnt(0)
	v_mul_f64 v[34:35], v[14:15], v[2:3]
	v_mul_f64 v[2:3], v[12:13], v[2:3]
	v_fma_f64 v[56:57], v[12:13], v[0:1], -v[34:35]
	v_fma_f64 v[58:59], v[14:15], v[0:1], v[2:3]
	s_clause 0x1
	global_load_dwordx4 v[0:3], v[32:33], off offset:16
	global_load_dwordx4 v[12:15], v[32:33], off offset:32
	ds_read_b128 v[32:35], v209 offset:13440
	ds_read_b128 v[36:39], v209 offset:14336
	s_waitcnt vmcnt(1) lgkmcnt(1)
	v_mul_f64 v[60:61], v[34:35], v[2:3]
	v_mul_f64 v[2:3], v[32:33], v[2:3]
	v_fma_f64 v[60:61], v[32:33], v[0:1], -v[60:61]
	v_fma_f64 v[62:63], v[34:35], v[0:1], v[2:3]
	s_waitcnt vmcnt(0)
	v_mul_f64 v[0:1], v[10:11], v[14:15]
	v_fma_f64 v[64:65], v[8:9], v[12:13], -v[0:1]
	v_mul_f64 v[0:1], v[8:9], v[14:15]
	v_fma_f64 v[66:67], v[10:11], v[12:13], v[0:1]
	ds_read_b128 v[0:3], v209 offset:25984
	ds_read_b128 v[8:11], v209 offset:26880
	;; [unrolled: 1-line block ×3, first 2 shown]
	s_waitcnt lgkmcnt(2)
	v_mul_f64 v[12:13], v[2:3], v[26:27]
	v_fma_f64 v[68:69], v[0:1], v[24:25], -v[12:13]
	v_mul_f64 v[0:1], v[0:1], v[26:27]
	ds_read_b128 v[12:15], v209 offset:8064
	v_fma_f64 v[70:71], v[2:3], v[24:25], v[0:1]
	v_lshlrev_b64 v[0:1], 4, v[109:110]
	v_mov_b32_e32 v109, v170
	v_add_co_u32 v2, s1, s12, v0
	v_add_co_ci_u32_e64 v3, s1, s13, v1, s1
	v_add_co_u32 v0, s1, 0x1800, v2
	v_add_co_ci_u32_e64 v1, s1, 0, v3, s1
	;; [unrolled: 2-line block ×3, first 2 shown]
	s_clause 0x1
	global_load_dwordx4 v[0:3], v[0:1], off offset:64
	global_load_dwordx4 v[24:27], v[72:73], off offset:48
	s_waitcnt vmcnt(1) lgkmcnt(0)
	v_mul_f64 v[74:75], v[14:15], v[2:3]
	v_mul_f64 v[2:3], v[12:13], v[2:3]
	v_fma_f64 v[74:75], v[12:13], v[0:1], -v[74:75]
	v_fma_f64 v[76:77], v[14:15], v[0:1], v[2:3]
	s_clause 0x1
	global_load_dwordx4 v[0:3], v[72:73], off offset:16
	global_load_dwordx4 v[12:15], v[72:73], off offset:32
	s_waitcnt vmcnt(1)
	v_mul_f64 v[72:73], v[38:39], v[2:3]
	v_mul_f64 v[2:3], v[36:37], v[2:3]
	v_fma_f64 v[72:73], v[36:37], v[0:1], -v[72:73]
	v_fma_f64 v[78:79], v[38:39], v[0:1], v[2:3]
	ds_read_b128 v[0:3], v209 offset:20608
	ds_read_b128 v[36:39], v209 offset:21504
	s_waitcnt vmcnt(0) lgkmcnt(1)
	v_mul_f64 v[80:81], v[2:3], v[14:15]
	v_fma_f64 v[80:81], v[0:1], v[12:13], -v[80:81]
	v_mul_f64 v[0:1], v[0:1], v[14:15]
	v_fma_f64 v[82:83], v[2:3], v[12:13], v[0:1]
	v_mul_f64 v[0:1], v[10:11], v[26:27]
	v_fma_f64 v[84:85], v[8:9], v[24:25], -v[0:1]
	v_mul_f64 v[0:1], v[8:9], v[26:27]
	v_fma_f64 v[86:87], v[10:11], v[24:25], v[0:1]
	v_lshlrev_b64 v[0:1], 4, v[108:109]
	v_add_co_u32 v2, s1, s12, v0
	v_add_co_ci_u32_e64 v3, s1, s13, v1, s1
	v_add_co_u32 v0, s1, 0x1800, v2
	v_add_co_ci_u32_e64 v1, s1, 0, v3, s1
	;; [unrolled: 2-line block ×3, first 2 shown]
	s_clause 0x1
	global_load_dwordx4 v[0:3], v[0:1], off offset:64
	global_load_dwordx4 v[8:11], v[12:13], off offset:48
	s_waitcnt vmcnt(1)
	v_mul_f64 v[14:15], v[34:35], v[2:3]
	v_mul_f64 v[2:3], v[32:33], v[2:3]
	v_fma_f64 v[88:89], v[32:33], v[0:1], -v[14:15]
	v_fma_f64 v[90:91], v[34:35], v[0:1], v[2:3]
	s_clause 0x1
	global_load_dwordx4 v[0:3], v[12:13], off offset:16
	global_load_dwordx4 v[12:15], v[12:13], off offset:32
	ds_read_b128 v[24:27], v209 offset:15232
	ds_read_b128 v[32:35], v209 offset:16128
	s_waitcnt vmcnt(1) lgkmcnt(1)
	v_mul_f64 v[92:93], v[26:27], v[2:3]
	v_mul_f64 v[2:3], v[24:25], v[2:3]
	v_fma_f64 v[92:93], v[24:25], v[0:1], -v[92:93]
	v_fma_f64 v[94:95], v[26:27], v[0:1], v[2:3]
	s_waitcnt vmcnt(0)
	v_mul_f64 v[0:1], v[38:39], v[14:15]
	v_fma_f64 v[97:98], v[36:37], v[12:13], -v[0:1]
	v_mul_f64 v[0:1], v[36:37], v[14:15]
	v_add_f64 v[181:182], v[92:93], -v[97:98]
	v_fma_f64 v[99:100], v[38:39], v[12:13], v[0:1]
	ds_read_b128 v[0:3], v209 offset:27776
	ds_read_b128 v[12:15], v209 offset:28672
	;; [unrolled: 1-line block ×3, first 2 shown]
	s_waitcnt lgkmcnt(2)
	v_mul_f64 v[24:25], v[2:3], v[10:11]
	v_fma_f64 v[101:102], v[0:1], v[8:9], -v[24:25]
	v_mul_f64 v[0:1], v[0:1], v[10:11]
	v_fma_f64 v[107:108], v[2:3], v[8:9], v[0:1]
	v_lshlrev_b64 v[0:1], 4, v[105:106]
	ds_read_b128 v[8:11], v209 offset:9856
	v_add_co_u32 v2, s1, s12, v0
	v_add_co_ci_u32_e64 v3, s1, s13, v1, s1
	v_add_co_u32 v0, s1, 0x1800, v2
	v_add_co_ci_u32_e64 v1, s1, 0, v3, s1
	;; [unrolled: 2-line block ×3, first 2 shown]
	s_clause 0x1
	global_load_dwordx4 v[0:3], v[0:1], off offset:64
	global_load_dwordx4 v[24:27], v[105:106], off offset:48
	s_waitcnt vmcnt(1) lgkmcnt(0)
	v_mul_f64 v[109:110], v[10:11], v[2:3]
	v_mul_f64 v[2:3], v[8:9], v[2:3]
	v_fma_f64 v[109:110], v[8:9], v[0:1], -v[109:110]
	v_fma_f64 v[111:112], v[10:11], v[0:1], v[2:3]
	s_clause 0x1
	global_load_dwordx4 v[0:3], v[105:106], off offset:16
	global_load_dwordx4 v[8:11], v[105:106], off offset:32
	s_waitcnt vmcnt(1)
	v_mul_f64 v[105:106], v[34:35], v[2:3]
	v_mul_f64 v[2:3], v[32:33], v[2:3]
	v_fma_f64 v[113:114], v[32:33], v[0:1], -v[105:106]
	v_fma_f64 v[115:116], v[34:35], v[0:1], v[2:3]
	ds_read_b128 v[0:3], v209 offset:22400
	ds_read_b128 v[32:35], v209 offset:23296
	s_waitcnt vmcnt(0) lgkmcnt(1)
	v_mul_f64 v[105:106], v[2:3], v[10:11]
	v_fma_f64 v[117:118], v[0:1], v[8:9], -v[105:106]
	v_mul_f64 v[0:1], v[0:1], v[10:11]
	v_mov_b32_e32 v105, v170
	v_fma_f64 v[119:120], v[2:3], v[8:9], v[0:1]
	v_mul_f64 v[0:1], v[14:15], v[26:27]
	v_fma_f64 v[121:122], v[12:13], v[24:25], -v[0:1]
	v_mul_f64 v[0:1], v[12:13], v[26:27]
	v_fma_f64 v[123:124], v[14:15], v[24:25], v[0:1]
	v_lshlrev_b64 v[0:1], 4, v[104:105]
	v_add_co_u32 v2, s1, s12, v0
	v_add_co_ci_u32_e64 v3, s1, s13, v1, s1
	v_add_co_u32 v0, s1, 0x1800, v2
	v_add_co_ci_u32_e64 v1, s1, 0, v3, s1
	;; [unrolled: 2-line block ×3, first 2 shown]
	s_clause 0x1
	global_load_dwordx4 v[0:3], v[0:1], off offset:64
	global_load_dwordx4 v[8:11], v[12:13], off offset:48
	s_waitcnt vmcnt(1)
	v_mul_f64 v[14:15], v[38:39], v[2:3]
	v_mul_f64 v[2:3], v[36:37], v[2:3]
	v_fma_f64 v[125:126], v[36:37], v[0:1], -v[14:15]
	v_fma_f64 v[127:128], v[38:39], v[0:1], v[2:3]
	s_clause 0x1
	global_load_dwordx4 v[0:3], v[12:13], off offset:16
	global_load_dwordx4 v[12:15], v[12:13], off offset:32
	ds_read_b128 v[24:27], v209 offset:17024
	ds_read_b128 v[36:39], v209 offset:17920
	s_waitcnt vmcnt(1) lgkmcnt(1)
	v_mul_f64 v[104:105], v[26:27], v[2:3]
	v_mul_f64 v[2:3], v[24:25], v[2:3]
	v_fma_f64 v[129:130], v[24:25], v[0:1], -v[104:105]
	v_fma_f64 v[131:132], v[26:27], v[0:1], v[2:3]
	s_waitcnt vmcnt(0)
	v_mul_f64 v[0:1], v[34:35], v[14:15]
	v_add_f64 v[104:105], v[88:89], -v[101:102]
	v_fma_f64 v[133:134], v[32:33], v[12:13], -v[0:1]
	v_mul_f64 v[0:1], v[32:33], v[14:15]
	v_add_f64 v[32:33], v[48:49], -v[52:53]
	v_add_f64 v[185:186], v[129:130], -v[133:134]
	v_fma_f64 v[135:136], v[34:35], v[12:13], v[0:1]
	ds_read_b128 v[0:3], v209 offset:29568
	ds_read_b128 v[12:15], v209 offset:30464
	v_add_f64 v[34:35], v[50:51], -v[54:55]
	s_waitcnt lgkmcnt(1)
	v_mul_f64 v[24:25], v[2:3], v[10:11]
	v_fma_f64 v[137:138], v[0:1], v[8:9], -v[24:25]
	v_mul_f64 v[0:1], v[0:1], v[10:11]
	v_add_f64 v[183:184], v[125:126], -v[137:138]
	v_fma_f64 v[139:140], v[2:3], v[8:9], v[0:1]
	v_lshlrev_b64 v[0:1], 4, v[169:170]
	v_add_co_u32 v2, s1, s12, v0
	v_add_co_ci_u32_e64 v3, s1, s13, v1, s1
	v_add_co_u32 v0, s1, 0x1800, v2
	v_add_co_ci_u32_e64 v1, s1, 0, v3, s1
	;; [unrolled: 2-line block ×3, first 2 shown]
	s_clause 0x1
	global_load_dwordx4 v[0:3], v[0:1], off offset:64
	global_load_dwordx4 v[8:11], v[24:25], off offset:48
	s_waitcnt vmcnt(1)
	v_mul_f64 v[26:27], v[18:19], v[2:3]
	v_mul_f64 v[2:3], v[16:17], v[2:3]
	v_fma_f64 v[141:142], v[16:17], v[0:1], -v[26:27]
	v_fma_f64 v[155:156], v[18:19], v[0:1], v[2:3]
	s_clause 0x1
	global_load_dwordx4 v[0:3], v[24:25], off offset:16
	global_load_dwordx4 v[16:19], v[24:25], off offset:32
	s_waitcnt vmcnt(1)
	v_mul_f64 v[24:25], v[38:39], v[2:3]
	v_mul_f64 v[2:3], v[36:37], v[2:3]
	v_fma_f64 v[169:170], v[36:37], v[0:1], -v[24:25]
	v_fma_f64 v[171:172], v[38:39], v[0:1], v[2:3]
	s_waitcnt vmcnt(0)
	v_mul_f64 v[0:1], v[6:7], v[18:19]
	v_add_f64 v[2:3], v[52:53], -v[48:49]
	v_fma_f64 v[173:174], v[4:5], v[16:17], -v[0:1]
	v_mul_f64 v[0:1], v[4:5], v[18:19]
	v_add_f64 v[4:5], v[54:55], -v[50:51]
	v_add_f64 v[18:19], v[44:45], -v[48:49]
	v_fma_f64 v[175:176], v[6:7], v[16:17], v[0:1]
	s_waitcnt lgkmcnt(0)
	v_mul_f64 v[0:1], v[14:15], v[10:11]
	v_add_f64 v[16:17], v[40:41], -v[52:53]
	v_fma_f64 v[177:178], v[12:13], v[8:9], -v[0:1]
	v_mul_f64 v[0:1], v[12:13], v[10:11]
	v_add_f64 v[12:13], v[42:43], -v[54:55]
	v_fma_f64 v[179:180], v[14:15], v[8:9], v[0:1]
	v_add_f64 v[0:1], v[40:41], -v[44:45]
	v_add_f64 v[14:15], v[46:47], -v[50:51]
	v_add_f64 v[0:1], v[0:1], v[2:3]
	v_add_f64 v[2:3], v[42:43], -v[46:47]
	v_add_f64 v[2:3], v[2:3], v[4:5]
	v_add_f64 v[4:5], v[44:45], v[48:49]
	v_fma_f64 v[8:9], v[4:5], -0.5, v[28:29]
	v_add_f64 v[4:5], v[46:47], v[50:51]
	v_fma_f64 v[10:11], v[4:5], -0.5, v[30:31]
	v_fma_f64 v[4:5], v[12:13], s[16:17], v[8:9]
	v_fma_f64 v[8:9], v[12:13], s[14:15], v[8:9]
	;; [unrolled: 1-line block ×9, first 2 shown]
	v_add_f64 v[8:9], v[40:41], v[52:53]
	v_fma_f64 v[10:11], v[18:19], s[6:7], v[10:11]
	v_fma_f64 v[6:7], v[2:3], s[4:5], v[6:7]
	v_fma_f64 v[24:25], v[8:9], -0.5, v[28:29]
	v_add_f64 v[8:9], v[42:43], v[54:55]
	v_fma_f64 v[2:3], v[2:3], s[4:5], v[10:11]
	v_add_f64 v[10:11], v[30:31], v[42:43]
	v_fma_f64 v[36:37], v[14:15], s[14:15], v[24:25]
	v_fma_f64 v[26:27], v[8:9], -0.5, v[30:31]
	v_add_f64 v[8:9], v[28:29], v[40:41]
	v_add_f64 v[28:29], v[44:45], -v[40:41]
	v_add_f64 v[30:31], v[46:47], -v[42:43]
	v_fma_f64 v[14:15], v[14:15], s[16:17], v[24:25]
	v_add_f64 v[42:43], v[58:59], -v[70:71]
	v_add_f64 v[10:11], v[10:11], v[46:47]
	v_fma_f64 v[24:25], v[18:19], s[16:17], v[26:27]
	v_fma_f64 v[18:19], v[18:19], s[14:15], v[26:27]
	v_add_f64 v[26:27], v[28:29], v[32:33]
	v_add_f64 v[28:29], v[30:31], v[34:35]
	v_fma_f64 v[30:31], v[12:13], s[6:7], v[36:37]
	v_fma_f64 v[32:33], v[12:13], s[8:9], v[14:15]
	v_add_f64 v[8:9], v[8:9], v[44:45]
	v_add_f64 v[34:35], v[62:63], v[66:67]
	v_add_f64 v[44:45], v[62:63], -v[66:67]
	v_add_f64 v[10:11], v[10:11], v[50:51]
	v_add_f64 v[50:51], v[60:61], -v[64:65]
	v_fma_f64 v[14:15], v[16:17], s[8:9], v[24:25]
	v_fma_f64 v[18:19], v[16:17], s[6:7], v[18:19]
	v_add_f64 v[24:25], v[56:57], -v[60:61]
	v_fma_f64 v[12:13], v[26:27], s[4:5], v[30:31]
	v_fma_f64 v[16:17], v[26:27], s[4:5], v[32:33]
	v_add_f64 v[26:27], v[68:69], -v[64:65]
	v_add_f64 v[32:33], v[60:61], v[64:65]
	v_add_f64 v[8:9], v[8:9], v[48:49]
	v_add_f64 v[48:49], v[56:57], -v[68:69]
	v_add_f64 v[10:11], v[10:11], v[54:55]
	v_fma_f64 v[14:15], v[28:29], s[4:5], v[14:15]
	v_fma_f64 v[18:19], v[28:29], s[4:5], v[18:19]
	v_add_f64 v[36:37], v[24:25], v[26:27]
	v_add_f64 v[24:25], v[58:59], -v[62:63]
	v_add_f64 v[26:27], v[70:71], -v[66:67]
	v_add_f64 v[8:9], v[8:9], v[52:53]
	v_add_f64 v[52:53], v[60:61], -v[56:57]
	v_add_f64 v[38:39], v[24:25], v[26:27]
	ds_read_b128 v[24:27], v252
	ds_read_b128 v[28:31], v253
	s_waitcnt lgkmcnt(1)
	v_fma_f64 v[40:41], v[32:33], -0.5, v[24:25]
	v_fma_f64 v[46:47], v[34:35], -0.5, v[26:27]
	v_fma_f64 v[32:33], v[42:43], s[16:17], v[40:41]
	v_fma_f64 v[40:41], v[42:43], s[14:15], v[40:41]
	;; [unrolled: 1-line block ×10, first 2 shown]
	v_add_f64 v[40:41], v[56:57], v[68:69]
	v_fma_f64 v[34:35], v[38:39], s[4:5], v[34:35]
	v_fma_f64 v[38:39], v[38:39], s[4:5], v[46:47]
	v_add_f64 v[46:47], v[58:59], v[70:71]
	v_fma_f64 v[40:41], v[40:41], -0.5, v[24:25]
	v_add_f64 v[24:25], v[24:25], v[56:57]
	v_add_f64 v[56:57], v[62:63], -v[58:59]
	v_fma_f64 v[46:47], v[46:47], -0.5, v[26:27]
	v_add_f64 v[26:27], v[26:27], v[58:59]
	v_add_f64 v[58:59], v[66:67], -v[70:71]
	v_fma_f64 v[54:55], v[44:45], s[14:15], v[40:41]
	v_fma_f64 v[40:41], v[44:45], s[16:17], v[40:41]
	v_add_f64 v[44:45], v[64:65], -v[68:69]
	v_add_f64 v[24:25], v[24:25], v[60:61]
	v_fma_f64 v[60:61], v[50:51], s[16:17], v[46:47]
	v_fma_f64 v[46:47], v[50:51], s[14:15], v[46:47]
	v_add_f64 v[26:27], v[26:27], v[62:63]
	v_fma_f64 v[50:51], v[42:43], s[6:7], v[54:55]
	v_add_f64 v[54:55], v[56:57], v[58:59]
	v_add_f64 v[44:45], v[52:53], v[44:45]
	v_fma_f64 v[52:53], v[42:43], s[8:9], v[40:41]
	v_fma_f64 v[42:43], v[48:49], s[8:9], v[60:61]
	v_fma_f64 v[46:47], v[48:49], s[6:7], v[46:47]
	v_add_f64 v[48:49], v[74:75], -v[72:73]
	v_add_f64 v[58:59], v[76:77], -v[86:87]
	v_add_f64 v[24:25], v[24:25], v[64:65]
	v_add_f64 v[60:61], v[78:79], -v[82:83]
	v_add_f64 v[64:65], v[74:75], -v[84:85]
	v_add_f64 v[26:27], v[26:27], v[66:67]
	v_add_f64 v[66:67], v[72:73], -v[80:81]
	v_fma_f64 v[40:41], v[44:45], s[4:5], v[50:51]
	v_add_f64 v[50:51], v[84:85], -v[80:81]
	v_fma_f64 v[44:45], v[44:45], s[4:5], v[52:53]
	v_fma_f64 v[42:43], v[54:55], s[4:5], v[42:43]
	;; [unrolled: 1-line block ×3, first 2 shown]
	v_add_f64 v[24:25], v[24:25], v[68:69]
	v_add_f64 v[68:69], v[72:73], -v[74:75]
	v_add_f64 v[26:27], v[26:27], v[70:71]
	v_add_f64 v[52:53], v[48:49], v[50:51]
	v_add_f64 v[48:49], v[76:77], -v[78:79]
	v_add_f64 v[50:51], v[86:87], -v[82:83]
	v_add_f64 v[54:55], v[48:49], v[50:51]
	v_add_f64 v[48:49], v[72:73], v[80:81]
	;; [unrolled: 1-line block ×3, first 2 shown]
	s_waitcnt lgkmcnt(0)
	v_fma_f64 v[56:57], v[48:49], -0.5, v[28:29]
	v_fma_f64 v[62:63], v[50:51], -0.5, v[30:31]
	v_fma_f64 v[48:49], v[58:59], s[16:17], v[56:57]
	v_fma_f64 v[56:57], v[58:59], s[14:15], v[56:57]
	;; [unrolled: 1-line block ×10, first 2 shown]
	v_add_f64 v[56:57], v[74:75], v[84:85]
	v_fma_f64 v[50:51], v[54:55], s[4:5], v[50:51]
	v_fma_f64 v[54:55], v[54:55], s[4:5], v[62:63]
	v_add_f64 v[62:63], v[76:77], v[86:87]
	v_fma_f64 v[56:57], v[56:57], -0.5, v[28:29]
	v_add_f64 v[28:29], v[28:29], v[74:75]
	v_add_f64 v[74:75], v[82:83], -v[86:87]
	v_fma_f64 v[62:63], v[62:63], -0.5, v[30:31]
	v_add_f64 v[30:31], v[30:31], v[76:77]
	v_fma_f64 v[70:71], v[60:61], s[14:15], v[56:57]
	v_fma_f64 v[56:57], v[60:61], s[16:17], v[56:57]
	v_add_f64 v[60:61], v[80:81], -v[84:85]
	v_add_f64 v[28:29], v[28:29], v[72:73]
	v_add_f64 v[72:73], v[78:79], -v[76:77]
	v_fma_f64 v[76:77], v[66:67], s[16:17], v[62:63]
	v_fma_f64 v[62:63], v[66:67], s[14:15], v[62:63]
	v_add_f64 v[30:31], v[30:31], v[78:79]
	v_fma_f64 v[66:67], v[58:59], s[6:7], v[70:71]
	v_add_f64 v[60:61], v[68:69], v[60:61]
	v_fma_f64 v[68:69], v[58:59], s[8:9], v[56:57]
	v_add_f64 v[70:71], v[72:73], v[74:75]
	v_fma_f64 v[58:59], v[64:65], s[8:9], v[76:77]
	v_fma_f64 v[62:63], v[64:65], s[6:7], v[62:63]
	v_add_f64 v[64:65], v[88:89], -v[92:93]
	v_add_f64 v[72:73], v[92:93], v[97:98]
	v_add_f64 v[28:29], v[28:29], v[80:81]
	;; [unrolled: 1-line block ×3, first 2 shown]
	v_add_f64 v[82:83], v[90:91], -v[107:108]
	v_add_f64 v[74:75], v[94:95], v[99:100]
	v_fma_f64 v[56:57], v[60:61], s[4:5], v[66:67]
	v_add_f64 v[66:67], v[101:102], -v[97:98]
	v_fma_f64 v[60:61], v[60:61], s[4:5], v[68:69]
	v_fma_f64 v[58:59], v[70:71], s[4:5], v[58:59]
	;; [unrolled: 1-line block ×3, first 2 shown]
	v_add_f64 v[28:29], v[28:29], v[84:85]
	v_add_f64 v[30:31], v[30:31], v[86:87]
	v_add_f64 v[84:85], v[94:95], -v[99:100]
	v_add_f64 v[76:77], v[64:65], v[66:67]
	v_add_f64 v[64:65], v[90:91], -v[94:95]
	v_add_f64 v[66:67], v[107:108], -v[99:100]
	v_add_f64 v[78:79], v[64:65], v[66:67]
	ds_read_b128 v[64:67], v254
	ds_read_b128 v[68:71], v255
	s_waitcnt lgkmcnt(1)
	v_fma_f64 v[80:81], v[72:73], -0.5, v[64:65]
	v_fma_f64 v[86:87], v[74:75], -0.5, v[66:67]
	v_fma_f64 v[72:73], v[82:83], s[16:17], v[80:81]
	v_fma_f64 v[80:81], v[82:83], s[14:15], v[80:81]
	;; [unrolled: 1-line block ×10, first 2 shown]
	v_add_f64 v[80:81], v[88:89], v[101:102]
	v_fma_f64 v[74:75], v[78:79], s[4:5], v[74:75]
	v_fma_f64 v[78:79], v[78:79], s[4:5], v[86:87]
	v_add_f64 v[86:87], v[90:91], v[107:108]
	v_fma_f64 v[80:81], v[80:81], -0.5, v[64:65]
	v_add_f64 v[64:65], v[64:65], v[88:89]
	v_add_f64 v[88:89], v[92:93], -v[88:89]
	v_fma_f64 v[86:87], v[86:87], -0.5, v[66:67]
	v_add_f64 v[66:67], v[66:67], v[90:91]
	v_add_f64 v[90:91], v[94:95], -v[90:91]
	v_add_f64 v[64:65], v[64:65], v[92:93]
	v_fma_f64 v[92:93], v[84:85], s[14:15], v[80:81]
	v_fma_f64 v[80:81], v[84:85], s[16:17], v[80:81]
	v_add_f64 v[66:67], v[66:67], v[94:95]
	v_add_f64 v[84:85], v[97:98], -v[101:102]
	v_add_f64 v[94:95], v[99:100], -v[107:108]
	v_add_f64 v[64:65], v[64:65], v[97:98]
	v_fma_f64 v[97:98], v[181:182], s[16:17], v[86:87]
	v_fma_f64 v[86:87], v[181:182], s[14:15], v[86:87]
	v_add_f64 v[66:67], v[66:67], v[99:100]
	v_add_f64 v[84:85], v[88:89], v[84:85]
	v_fma_f64 v[88:89], v[82:83], s[6:7], v[92:93]
	v_fma_f64 v[92:93], v[82:83], s[8:9], v[80:81]
	v_add_f64 v[90:91], v[90:91], v[94:95]
	v_add_f64 v[99:100], v[111:112], -v[123:124]
	v_add_f64 v[181:182], v[113:114], -v[117:118]
	v_add_f64 v[64:65], v[64:65], v[101:102]
	v_fma_f64 v[82:83], v[104:105], s[8:9], v[97:98]
	v_fma_f64 v[86:87], v[104:105], s[6:7], v[86:87]
	v_add_f64 v[66:67], v[66:67], v[107:108]
	v_add_f64 v[101:102], v[115:116], -v[119:120]
	v_fma_f64 v[80:81], v[84:85], s[4:5], v[88:89]
	v_add_f64 v[88:89], v[109:110], -v[113:114]
	v_fma_f64 v[84:85], v[84:85], s[4:5], v[92:93]
	;; [unrolled: 2-line block ×3, first 2 shown]
	v_fma_f64 v[86:87], v[90:91], s[4:5], v[86:87]
	v_add_f64 v[90:91], v[121:122], -v[117:118]
	v_add_f64 v[92:93], v[88:89], v[90:91]
	v_add_f64 v[88:89], v[111:112], -v[115:116]
	v_add_f64 v[90:91], v[123:124], -v[119:120]
	v_add_f64 v[94:95], v[88:89], v[90:91]
	v_add_f64 v[88:89], v[113:114], v[117:118]
	v_add_f64 v[90:91], v[115:116], v[119:120]
	s_waitcnt lgkmcnt(0)
	v_fma_f64 v[97:98], v[88:89], -0.5, v[68:69]
	v_fma_f64 v[104:105], v[90:91], -0.5, v[70:71]
	v_fma_f64 v[88:89], v[99:100], s[16:17], v[97:98]
	v_fma_f64 v[97:98], v[99:100], s[14:15], v[97:98]
	;; [unrolled: 1-line block ×10, first 2 shown]
	v_add_f64 v[97:98], v[109:110], v[121:122]
	v_fma_f64 v[90:91], v[94:95], s[4:5], v[90:91]
	v_fma_f64 v[94:95], v[94:95], s[4:5], v[104:105]
	v_add_f64 v[104:105], v[111:112], v[123:124]
	v_fma_f64 v[97:98], v[97:98], -0.5, v[68:69]
	v_add_f64 v[68:69], v[68:69], v[109:110]
	v_add_f64 v[108:109], v[113:114], -v[109:110]
	v_fma_f64 v[104:105], v[104:105], -0.5, v[70:71]
	v_add_f64 v[70:71], v[70:71], v[111:112]
	v_add_f64 v[110:111], v[115:116], -v[111:112]
	v_add_f64 v[68:69], v[68:69], v[113:114]
	v_fma_f64 v[113:114], v[101:102], s[14:15], v[97:98]
	v_fma_f64 v[97:98], v[101:102], s[16:17], v[97:98]
	v_add_f64 v[101:102], v[117:118], -v[121:122]
	v_add_f64 v[70:71], v[70:71], v[115:116]
	v_add_f64 v[115:116], v[119:120], -v[123:124]
	v_add_f64 v[68:69], v[68:69], v[117:118]
	v_fma_f64 v[117:118], v[181:182], s[16:17], v[104:105]
	v_fma_f64 v[104:105], v[181:182], s[14:15], v[104:105]
	v_add_f64 v[101:102], v[108:109], v[101:102]
	v_fma_f64 v[108:109], v[99:100], s[6:7], v[113:114]
	v_fma_f64 v[112:113], v[99:100], s[8:9], v[97:98]
	v_add_f64 v[110:111], v[110:111], v[115:116]
	v_add_f64 v[70:71], v[70:71], v[119:120]
	;; [unrolled: 1-line block ×4, first 2 shown]
	v_fma_f64 v[99:100], v[106:107], s[8:9], v[117:118]
	v_fma_f64 v[106:107], v[106:107], s[6:7], v[104:105]
	v_add_f64 v[120:121], v[127:128], -v[139:140]
	v_fma_f64 v[97:98], v[101:102], s[4:5], v[108:109]
	v_fma_f64 v[104:105], v[101:102], s[4:5], v[112:113]
	v_add_f64 v[101:102], v[125:126], -v[129:130]
	v_add_f64 v[108:109], v[137:138], -v[133:134]
	v_add_f64 v[112:113], v[129:130], v[133:134]
	v_add_f64 v[70:71], v[70:71], v[123:124]
	v_add_f64 v[122:123], v[131:132], -v[135:136]
	v_fma_f64 v[99:100], v[110:111], s[4:5], v[99:100]
	v_fma_f64 v[106:107], v[110:111], s[4:5], v[106:107]
	v_add_f64 v[110:111], v[139:140], -v[135:136]
	v_add_f64 v[101:102], v[101:102], v[108:109]
	v_add_f64 v[108:109], v[127:128], -v[131:132]
	v_add_f64 v[118:119], v[108:109], v[110:111]
	ds_read_b128 v[108:111], v103
	s_waitcnt lgkmcnt(0)
	s_barrier
	buffer_gl0_inv
	v_fma_f64 v[116:117], v[112:113], -0.5, v[108:109]
	v_fma_f64 v[181:182], v[114:115], -0.5, v[110:111]
	v_fma_f64 v[112:113], v[120:121], s[16:17], v[116:117]
	v_fma_f64 v[116:117], v[120:121], s[14:15], v[116:117]
	;; [unrolled: 1-line block ×10, first 2 shown]
	v_add_f64 v[101:102], v[125:126], v[137:138]
	v_fma_f64 v[114:115], v[118:119], s[4:5], v[114:115]
	v_fma_f64 v[118:119], v[118:119], s[4:5], v[181:182]
	v_add_f64 v[181:182], v[127:128], v[139:140]
	v_fma_f64 v[101:102], v[101:102], -0.5, v[108:109]
	v_add_f64 v[108:109], v[108:109], v[125:126]
	v_add_f64 v[124:125], v[129:130], -v[125:126]
	v_fma_f64 v[181:182], v[181:182], -0.5, v[110:111]
	v_add_f64 v[110:111], v[110:111], v[127:128]
	v_add_f64 v[126:127], v[131:132], -v[127:128]
	v_add_f64 v[108:109], v[108:109], v[129:130]
	v_fma_f64 v[129:130], v[122:123], s[14:15], v[101:102]
	v_fma_f64 v[101:102], v[122:123], s[16:17], v[101:102]
	v_add_f64 v[110:111], v[110:111], v[131:132]
	v_add_f64 v[122:123], v[133:134], -v[137:138]
	v_add_f64 v[131:132], v[135:136], -v[139:140]
	v_add_f64 v[108:109], v[108:109], v[133:134]
	v_fma_f64 v[133:134], v[185:186], s[16:17], v[181:182]
	v_fma_f64 v[101:102], v[120:121], s[8:9], v[101:102]
	v_add_f64 v[110:111], v[110:111], v[135:136]
	v_fma_f64 v[135:136], v[185:186], s[14:15], v[181:182]
	v_add_f64 v[124:125], v[124:125], v[122:123]
	;; [unrolled: 2-line block ×3, first 2 shown]
	v_add_f64 v[185:186], v[169:170], -v[173:174]
	v_add_f64 v[108:109], v[108:109], v[137:138]
	v_fma_f64 v[128:129], v[183:184], s[8:9], v[133:134]
	v_add_f64 v[110:111], v[110:111], v[139:140]
	v_fma_f64 v[130:131], v[183:184], s[6:7], v[135:136]
	v_add_f64 v[136:137], v[155:156], -v[179:180]
	v_fma_f64 v[120:121], v[124:125], s[4:5], v[122:123]
	v_fma_f64 v[124:125], v[124:125], s[4:5], v[101:102]
	v_add_f64 v[101:102], v[141:142], -v[169:170]
	v_add_f64 v[138:139], v[171:172], -v[175:176]
	v_add_f64 v[183:184], v[141:142], -v[177:178]
	v_fma_f64 v[122:123], v[126:127], s[4:5], v[128:129]
	v_add_f64 v[128:129], v[177:178], -v[173:174]
	v_fma_f64 v[126:127], v[126:127], s[4:5], v[130:131]
	v_add_f64 v[130:131], v[179:180], -v[175:176]
	v_add_f64 v[101:102], v[101:102], v[128:129]
	v_add_f64 v[128:129], v[155:156], -v[171:172]
	v_add_f64 v[134:135], v[128:129], v[130:131]
	v_add_f64 v[128:129], v[169:170], v[173:174]
	;; [unrolled: 1-line block ×3, first 2 shown]
	v_fma_f64 v[132:133], v[128:129], -0.5, v[20:21]
	v_fma_f64 v[181:182], v[130:131], -0.5, v[22:23]
	v_fma_f64 v[128:129], v[136:137], s[16:17], v[132:133]
	v_fma_f64 v[132:133], v[136:137], s[14:15], v[132:133]
	;; [unrolled: 1-line block ×10, first 2 shown]
	v_add_f64 v[101:102], v[141:142], v[177:178]
	v_fma_f64 v[130:131], v[134:135], s[4:5], v[130:131]
	v_fma_f64 v[134:135], v[134:135], s[4:5], v[181:182]
	v_add_f64 v[181:182], v[155:156], v[179:180]
	v_fma_f64 v[101:102], v[101:102], -0.5, v[20:21]
	v_add_f64 v[20:21], v[20:21], v[141:142]
	v_add_f64 v[140:141], v[169:170], -v[141:142]
	v_fma_f64 v[181:182], v[181:182], -0.5, v[22:23]
	v_add_f64 v[22:23], v[22:23], v[155:156]
	v_add_f64 v[155:156], v[171:172], -v[155:156]
	v_fma_f64 v[142:143], v[138:139], s[14:15], v[101:102]
	v_add_f64 v[20:21], v[20:21], v[169:170]
	v_fma_f64 v[101:102], v[138:139], s[16:17], v[101:102]
	v_add_f64 v[138:139], v[173:174], -v[177:178]
	v_add_f64 v[22:23], v[22:23], v[171:172]
	v_add_f64 v[169:170], v[175:176], -v[179:180]
	v_fma_f64 v[171:172], v[185:186], s[16:17], v[181:182]
	v_add_f64 v[20:21], v[20:21], v[173:174]
	v_fma_f64 v[173:174], v[185:186], s[14:15], v[181:182]
	v_add_f64 v[140:141], v[140:141], v[138:139]
	v_add_f64 v[22:23], v[22:23], v[175:176]
	v_fma_f64 v[138:139], v[136:137], s[6:7], v[142:143]
	v_fma_f64 v[101:102], v[136:137], s[8:9], v[101:102]
	v_add_f64 v[142:143], v[155:156], v[169:170]
	v_fma_f64 v[155:156], v[183:184], s[8:9], v[171:172]
	v_add_f64 v[20:21], v[20:21], v[177:178]
	v_fma_f64 v[169:170], v[183:184], s[6:7], v[173:174]
	s_mov_b32 s6, exec_lo
	v_add_f64 v[22:23], v[22:23], v[179:180]
	v_fma_f64 v[136:137], v[140:141], s[4:5], v[138:139]
	v_fma_f64 v[140:141], v[140:141], s[4:5], v[101:102]
	;; [unrolled: 1-line block ×4, first 2 shown]
	ds_write_b128 v209, v[8:11]
	ds_write_b128 v209, v[4:7] offset:6272
	ds_write_b128 v209, v[12:15] offset:12544
	ds_write_b128 v209, v[16:19] offset:18816
	ds_write_b128 v209, v[0:3] offset:25088
	ds_write_b128 v252, v[24:27]
	ds_write_b128 v252, v[32:35] offset:6272
	ds_write_b128 v252, v[40:43] offset:12544
	ds_write_b128 v252, v[44:47] offset:18816
	ds_write_b128 v252, v[36:39] offset:25088
	ds_write_b128 v253, v[28:31]
	ds_write_b128 v253, v[48:51] offset:6272
	ds_write_b128 v253, v[56:59] offset:12544
	ds_write_b128 v253, v[60:63] offset:18816
	ds_write_b128 v253, v[52:55] offset:25088
	ds_write_b128 v254, v[64:67]
	ds_write_b128 v254, v[72:75] offset:6272
	ds_write_b128 v254, v[80:83] offset:12544
	ds_write_b128 v254, v[84:87] offset:18816
	ds_write_b128 v254, v[76:79] offset:25088
	ds_write_b128 v255, v[68:71]
	ds_write_b128 v255, v[88:91] offset:6272
	ds_write_b128 v255, v[97:100] offset:12544
	ds_write_b128 v255, v[104:107] offset:18816
	ds_write_b128 v255, v[92:95] offset:25088
	ds_write_b128 v103, v[108:111]
	ds_write_b128 v103, v[112:115] offset:6272
	ds_write_b128 v103, v[120:123] offset:12544
	ds_write_b128 v103, v[124:127] offset:18816
	ds_write_b128 v103, v[116:119] offset:25088
	ds_write_b128 v215, v[20:23]
	ds_write_b128 v215, v[128:131] offset:6272
	ds_write_b128 v215, v[136:139] offset:12544
	ds_write_b128 v215, v[140:143] offset:18816
	ds_write_b128 v215, v[132:135] offset:25088
	s_waitcnt lgkmcnt(0)
	s_barrier
	buffer_gl0_inv
	ds_read_b128 v[4:7], v209
	v_lshlrev_b32_e32 v0, 4, v148
	s_add_u32 s4, s12, 0x7a40
	s_addc_u32 s5, s13, 0
                                        ; implicit-def: $vgpr2_vgpr3
                                        ; implicit-def: $vgpr8_vgpr9
	v_sub_nc_u32_e32 v10, 0, v0
	v_cmpx_ne_u32_e32 0, v148
	s_xor_b32 s6, exec_lo, s6
	s_cbranch_execz .LBB0_21
; %bb.20:
	v_mov_b32_e32 v149, 0
	v_lshlrev_b64 v[0:1], 4, v[148:149]
	v_add_co_u32 v0, s1, s4, v0
	v_add_co_ci_u32_e64 v1, s1, s5, v1, s1
	global_load_dwordx4 v[11:14], v[0:1], off
	ds_read_b128 v[0:3], v10 offset:31360
	s_waitcnt lgkmcnt(0)
	v_add_f64 v[8:9], v[4:5], -v[0:1]
	v_add_f64 v[15:16], v[6:7], v[2:3]
	v_add_f64 v[2:3], v[6:7], -v[2:3]
	v_add_f64 v[0:1], v[4:5], v[0:1]
	v_mul_f64 v[6:7], v[8:9], 0.5
	v_mul_f64 v[4:5], v[15:16], 0.5
	;; [unrolled: 1-line block ×3, first 2 shown]
	s_waitcnt vmcnt(0)
	v_mul_f64 v[8:9], v[6:7], v[13:14]
	v_fma_f64 v[15:16], v[4:5], v[13:14], v[2:3]
	v_fma_f64 v[2:3], v[4:5], v[13:14], -v[2:3]
	v_fma_f64 v[17:18], v[0:1], 0.5, v[8:9]
	v_fma_f64 v[0:1], v[0:1], 0.5, -v[8:9]
	v_fma_f64 v[8:9], -v[11:12], v[6:7], v[15:16]
	v_fma_f64 v[2:3], -v[11:12], v[6:7], v[2:3]
	v_fma_f64 v[13:14], v[4:5], v[11:12], v[17:18]
	v_fma_f64 v[0:1], -v[4:5], v[11:12], v[0:1]
                                        ; implicit-def: $vgpr4_vgpr5
	ds_write_b64 v209, v[13:14]
.LBB0_21:
	s_andn2_saveexec_b32 s1, s6
	s_cbranch_execz .LBB0_23
; %bb.22:
	v_mov_b32_e32 v15, 0
	s_waitcnt lgkmcnt(0)
	v_add_f64 v[13:14], v[4:5], v[6:7]
	v_add_f64 v[0:1], v[4:5], -v[6:7]
	v_mov_b32_e32 v8, 0
	v_mov_b32_e32 v9, 0
	ds_read_b64 v[11:12], v15 offset:15688
	v_mov_b32_e32 v2, v8
	v_mov_b32_e32 v3, v9
	s_waitcnt lgkmcnt(0)
	v_xor_b32_e32 v12, 0x80000000, v12
	ds_write_b64 v209, v[13:14]
	ds_write_b64 v15, v[11:12] offset:15688
.LBB0_23:
	s_or_b32 exec_lo, exec_lo, s1
	v_mov_b32_e32 v155, 0
	ds_write_b64 v209, v[8:9] offset:8
	ds_write_b128 v10, v[0:3] offset:31360
	s_waitcnt lgkmcnt(2)
	v_lshlrev_b64 v[4:5], 4, v[154:155]
	v_mov_b32_e32 v163, v155
	v_mov_b32_e32 v160, v155
	;; [unrolled: 1-line block ×4, first 2 shown]
	v_lshlrev_b64 v[11:12], 4, v[162:163]
	v_add_co_u32 v4, s1, s4, v4
	v_add_co_ci_u32_e64 v5, s1, s5, v5, s1
	v_mov_b32_e32 v162, v155
	v_add_co_u32 v11, s1, s4, v11
	global_load_dwordx4 v[4:7], v[4:5], off
	v_add_co_ci_u32_e64 v12, s1, s5, v12, s1
	v_lshlrev_b64 v[8:9], 4, v[161:162]
	global_load_dwordx4 v[11:14], v[11:12], off
	ds_read_b128 v[0:3], v252
	ds_read_b128 v[15:18], v10 offset:30464
	v_add_co_u32 v8, s1, s4, v8
	v_add_co_ci_u32_e64 v9, s1, s5, v9, s1
	global_load_dwordx4 v[19:22], v[8:9], off
	s_waitcnt lgkmcnt(0)
	v_add_f64 v[8:9], v[0:1], -v[15:16]
	v_add_f64 v[23:24], v[2:3], v[17:18]
	v_add_f64 v[2:3], v[2:3], -v[17:18]
	v_add_f64 v[0:1], v[0:1], v[15:16]
	v_mul_f64 v[8:9], v[8:9], 0.5
	v_mul_f64 v[17:18], v[23:24], 0.5
	;; [unrolled: 1-line block ×3, first 2 shown]
	s_waitcnt vmcnt(2)
	v_mul_f64 v[15:16], v[8:9], v[6:7]
	v_fma_f64 v[23:24], v[17:18], v[6:7], v[2:3]
	v_fma_f64 v[6:7], v[17:18], v[6:7], -v[2:3]
	v_fma_f64 v[25:26], v[0:1], 0.5, v[15:16]
	v_fma_f64 v[15:16], v[0:1], 0.5, -v[15:16]
	v_fma_f64 v[2:3], -v[4:5], v[8:9], v[23:24]
	v_fma_f64 v[6:7], -v[4:5], v[8:9], v[6:7]
	v_lshlrev_b64 v[8:9], 4, v[159:160]
	v_mov_b32_e32 v159, v155
	v_add_co_u32 v8, s1, s4, v8
	v_add_co_ci_u32_e64 v9, s1, s5, v9, s1
	v_fma_f64 v[0:1], v[17:18], v[4:5], v[25:26]
	v_fma_f64 v[4:5], -v[17:18], v[4:5], v[15:16]
	ds_write_b128 v252, v[0:3]
	ds_write_b128 v10, v[4:7] offset:30464
	ds_read_b128 v[0:3], v253
	ds_read_b128 v[4:7], v10 offset:29568
	global_load_dwordx4 v[15:18], v[8:9], off
	s_waitcnt lgkmcnt(0)
	v_add_f64 v[8:9], v[0:1], -v[4:5]
	v_add_f64 v[23:24], v[2:3], v[6:7]
	v_add_f64 v[2:3], v[2:3], -v[6:7]
	v_add_f64 v[0:1], v[0:1], v[4:5]
	v_mul_f64 v[6:7], v[8:9], 0.5
	v_mul_f64 v[8:9], v[23:24], 0.5
	;; [unrolled: 1-line block ×3, first 2 shown]
	s_waitcnt vmcnt(2)
	v_mul_f64 v[4:5], v[6:7], v[13:14]
	v_fma_f64 v[23:24], v[8:9], v[13:14], v[2:3]
	v_fma_f64 v[13:14], v[8:9], v[13:14], -v[2:3]
	v_fma_f64 v[25:26], v[0:1], 0.5, v[4:5]
	v_fma_f64 v[4:5], v[0:1], 0.5, -v[4:5]
	v_fma_f64 v[2:3], -v[11:12], v[6:7], v[23:24]
	v_fma_f64 v[6:7], -v[11:12], v[6:7], v[13:14]
	v_fma_f64 v[0:1], v[8:9], v[11:12], v[25:26]
	v_fma_f64 v[4:5], -v[8:9], v[11:12], v[4:5]
	s_clause 0x1
	buffer_load_dword v8, off, s[28:31], 0
	buffer_load_dword v9, off, s[28:31], 0 offset:4
	s_waitcnt vmcnt(0)
	v_mov_b32_e32 v9, v155
	ds_write_b128 v253, v[0:3]
	ds_write_b128 v10, v[4:7] offset:29568
	ds_read_b128 v[0:3], v254
	ds_read_b128 v[4:7], v10 offset:28672
	s_waitcnt lgkmcnt(0)
	v_add_f64 v[23:24], v[2:3], v[6:7]
	v_add_f64 v[2:3], v[2:3], -v[6:7]
	v_mul_f64 v[2:3], v[2:3], 0.5
	v_lshlrev_b64 v[8:9], 4, v[8:9]
	v_add_co_u32 v8, s1, s4, v8
	v_add_co_ci_u32_e64 v9, s1, s5, v9, s1
	global_load_dwordx4 v[11:14], v[8:9], off
	v_add_f64 v[8:9], v[0:1], -v[4:5]
	v_add_f64 v[0:1], v[0:1], v[4:5]
	v_mul_f64 v[6:7], v[8:9], 0.5
	v_mul_f64 v[8:9], v[23:24], 0.5
	v_mul_f64 v[4:5], v[6:7], v[21:22]
	v_fma_f64 v[23:24], v[8:9], v[21:22], v[2:3]
	v_fma_f64 v[21:22], v[8:9], v[21:22], -v[2:3]
	v_fma_f64 v[25:26], v[0:1], 0.5, v[4:5]
	v_fma_f64 v[4:5], v[0:1], 0.5, -v[4:5]
	v_fma_f64 v[2:3], -v[19:20], v[6:7], v[23:24]
	v_fma_f64 v[6:7], -v[19:20], v[6:7], v[21:22]
	v_fma_f64 v[0:1], v[8:9], v[19:20], v[25:26]
	v_fma_f64 v[4:5], -v[8:9], v[19:20], v[4:5]
	v_lshlrev_b64 v[8:9], 4, v[158:159]
	ds_write_b128 v254, v[0:3]
	ds_write_b128 v10, v[4:7] offset:28672
	v_add_co_u32 v8, s1, s4, v8
	ds_read_b128 v[0:3], v255
	ds_read_b128 v[4:7], v10 offset:27776
	v_add_co_ci_u32_e64 v9, s1, s5, v9, s1
	global_load_dwordx4 v[19:22], v[8:9], off
	s_waitcnt lgkmcnt(0)
	v_add_f64 v[8:9], v[0:1], -v[4:5]
	v_add_f64 v[23:24], v[2:3], v[6:7]
	v_add_f64 v[2:3], v[2:3], -v[6:7]
	v_add_f64 v[0:1], v[0:1], v[4:5]
	v_mul_f64 v[6:7], v[8:9], 0.5
	v_mul_f64 v[8:9], v[23:24], 0.5
	;; [unrolled: 1-line block ×3, first 2 shown]
	v_mul_f64 v[4:5], v[6:7], v[17:18]
	v_fma_f64 v[23:24], v[8:9], v[17:18], v[2:3]
	v_fma_f64 v[17:18], v[8:9], v[17:18], -v[2:3]
	v_fma_f64 v[25:26], v[0:1], 0.5, v[4:5]
	v_fma_f64 v[4:5], v[0:1], 0.5, -v[4:5]
	v_fma_f64 v[2:3], -v[15:16], v[6:7], v[23:24]
	v_fma_f64 v[6:7], -v[15:16], v[6:7], v[17:18]
	v_fma_f64 v[0:1], v[8:9], v[15:16], v[25:26]
	v_fma_f64 v[4:5], -v[8:9], v[15:16], v[4:5]
	v_lshlrev_b64 v[8:9], 4, v[250:251]
	v_mov_b32_e32 v250, v155
	ds_write_b128 v255, v[0:3]
	ds_write_b128 v10, v[4:7] offset:27776
	v_add_co_u32 v8, s1, s4, v8
	ds_read_b128 v[0:3], v103
	ds_read_b128 v[4:7], v10 offset:26880
	v_add_co_ci_u32_e64 v9, s1, s5, v9, s1
	global_load_dwordx4 v[15:18], v[8:9], off
	s_waitcnt lgkmcnt(0)
	v_add_f64 v[8:9], v[0:1], -v[4:5]
	v_add_f64 v[23:24], v[2:3], v[6:7]
	v_add_f64 v[2:3], v[2:3], -v[6:7]
	v_add_f64 v[0:1], v[0:1], v[4:5]
	v_mul_f64 v[6:7], v[8:9], 0.5
	v_mul_f64 v[8:9], v[23:24], 0.5
	;; [unrolled: 1-line block ×3, first 2 shown]
	s_waitcnt vmcnt(2)
	v_mul_f64 v[4:5], v[6:7], v[13:14]
	v_fma_f64 v[23:24], v[8:9], v[13:14], v[2:3]
	v_fma_f64 v[13:14], v[8:9], v[13:14], -v[2:3]
	v_fma_f64 v[25:26], v[0:1], 0.5, v[4:5]
	v_fma_f64 v[4:5], v[0:1], 0.5, -v[4:5]
	v_fma_f64 v[2:3], -v[11:12], v[6:7], v[23:24]
	v_fma_f64 v[6:7], -v[11:12], v[6:7], v[13:14]
	v_fma_f64 v[0:1], v[8:9], v[11:12], v[25:26]
	v_fma_f64 v[4:5], -v[8:9], v[11:12], v[4:5]
	v_lshlrev_b64 v[8:9], 4, v[249:250]
	ds_write_b128 v103, v[0:3]
	ds_write_b128 v10, v[4:7] offset:26880
	v_add_co_u32 v8, s1, s4, v8
	ds_read_b128 v[0:3], v215
	ds_read_b128 v[4:7], v10 offset:25984
	v_add_co_ci_u32_e64 v9, s1, s5, v9, s1
	global_load_dwordx4 v[11:14], v[8:9], off
	s_waitcnt lgkmcnt(0)
	v_add_f64 v[8:9], v[0:1], -v[4:5]
	v_add_f64 v[23:24], v[2:3], v[6:7]
	v_add_f64 v[2:3], v[2:3], -v[6:7]
	v_add_f64 v[0:1], v[0:1], v[4:5]
	v_mul_f64 v[6:7], v[8:9], 0.5
	v_mul_f64 v[8:9], v[23:24], 0.5
	v_mul_f64 v[2:3], v[2:3], 0.5
	s_waitcnt vmcnt(2)
	v_mul_f64 v[4:5], v[6:7], v[21:22]
	v_fma_f64 v[23:24], v[8:9], v[21:22], v[2:3]
	v_fma_f64 v[21:22], v[8:9], v[21:22], -v[2:3]
	v_fma_f64 v[25:26], v[0:1], 0.5, v[4:5]
	v_fma_f64 v[4:5], v[0:1], 0.5, -v[4:5]
	v_fma_f64 v[2:3], -v[19:20], v[6:7], v[23:24]
	v_fma_f64 v[6:7], -v[19:20], v[6:7], v[21:22]
	v_fma_f64 v[0:1], v[8:9], v[19:20], v[25:26]
	v_fma_f64 v[4:5], -v[8:9], v[19:20], v[4:5]
	v_lshlrev_b64 v[8:9], 4, v[168:169]
	v_mov_b32_e32 v168, v155
	ds_write_b128 v215, v[0:3]
	ds_write_b128 v10, v[4:7] offset:25984
	v_add_co_u32 v8, s1, s4, v8
	ds_read_b128 v[0:3], v214
	ds_read_b128 v[4:7], v10 offset:25088
	v_add_co_ci_u32_e64 v9, s1, s5, v9, s1
	global_load_dwordx4 v[19:22], v[8:9], off
	s_waitcnt lgkmcnt(0)
	v_add_f64 v[8:9], v[0:1], -v[4:5]
	v_add_f64 v[23:24], v[2:3], v[6:7]
	v_add_f64 v[2:3], v[2:3], -v[6:7]
	v_add_f64 v[0:1], v[0:1], v[4:5]
	v_mul_f64 v[6:7], v[8:9], 0.5
	v_mul_f64 v[8:9], v[23:24], 0.5
	v_mul_f64 v[2:3], v[2:3], 0.5
	s_waitcnt vmcnt(2)
	v_mul_f64 v[4:5], v[6:7], v[17:18]
	v_fma_f64 v[23:24], v[8:9], v[17:18], v[2:3]
	v_fma_f64 v[17:18], v[8:9], v[17:18], -v[2:3]
	v_fma_f64 v[25:26], v[0:1], 0.5, v[4:5]
	v_fma_f64 v[4:5], v[0:1], 0.5, -v[4:5]
	v_fma_f64 v[2:3], -v[15:16], v[6:7], v[23:24]
	v_fma_f64 v[6:7], -v[15:16], v[6:7], v[17:18]
	v_fma_f64 v[0:1], v[8:9], v[15:16], v[25:26]
	v_fma_f64 v[4:5], -v[8:9], v[15:16], v[4:5]
	v_lshlrev_b64 v[8:9], 4, v[167:168]
	v_mov_b32_e32 v167, v155
	;; [unrolled: 27-line block ×3, first 2 shown]
	ds_write_b128 v147, v[0:3]
	ds_write_b128 v10, v[4:7] offset:24192
	v_add_co_u32 v8, s1, s4, v8
	ds_read_b128 v[0:3], v209 offset:8064
	ds_read_b128 v[4:7], v10 offset:23296
	v_add_co_ci_u32_e64 v9, s1, s5, v9, s1
	v_mov_b32_e32 v147, v155
	global_load_dwordx4 v[11:14], v[8:9], off
	s_waitcnt lgkmcnt(0)
	v_add_f64 v[8:9], v[0:1], -v[4:5]
	v_add_f64 v[23:24], v[2:3], v[6:7]
	v_add_f64 v[2:3], v[2:3], -v[6:7]
	v_add_f64 v[0:1], v[0:1], v[4:5]
	v_mul_f64 v[6:7], v[8:9], 0.5
	v_mul_f64 v[8:9], v[23:24], 0.5
	;; [unrolled: 1-line block ×3, first 2 shown]
	s_waitcnt vmcnt(2)
	v_mul_f64 v[4:5], v[6:7], v[21:22]
	v_fma_f64 v[23:24], v[8:9], v[21:22], v[2:3]
	v_fma_f64 v[21:22], v[8:9], v[21:22], -v[2:3]
	v_fma_f64 v[25:26], v[0:1], 0.5, v[4:5]
	v_fma_f64 v[4:5], v[0:1], 0.5, -v[4:5]
	v_fma_f64 v[2:3], -v[19:20], v[6:7], v[23:24]
	v_fma_f64 v[6:7], -v[19:20], v[6:7], v[21:22]
	v_fma_f64 v[0:1], v[8:9], v[19:20], v[25:26]
	v_fma_f64 v[4:5], -v[8:9], v[19:20], v[4:5]
	v_lshlrev_b64 v[8:9], 4, v[165:166]
	v_mov_b32_e32 v165, v155
	ds_write_b128 v209, v[0:3] offset:8064
	ds_write_b128 v10, v[4:7] offset:23296
	v_add_co_u32 v8, s1, s4, v8
	ds_read_b128 v[0:3], v209 offset:8960
	ds_read_b128 v[4:7], v10 offset:22400
	v_add_co_ci_u32_e64 v9, s1, s5, v9, s1
	global_load_dwordx4 v[19:22], v[8:9], off
	s_waitcnt lgkmcnt(0)
	v_add_f64 v[8:9], v[0:1], -v[4:5]
	v_add_f64 v[23:24], v[2:3], v[6:7]
	v_add_f64 v[2:3], v[2:3], -v[6:7]
	v_add_f64 v[0:1], v[0:1], v[4:5]
	v_mul_f64 v[6:7], v[8:9], 0.5
	v_mul_f64 v[8:9], v[23:24], 0.5
	;; [unrolled: 1-line block ×3, first 2 shown]
	s_waitcnt vmcnt(2)
	v_mul_f64 v[4:5], v[6:7], v[17:18]
	v_fma_f64 v[23:24], v[8:9], v[17:18], v[2:3]
	v_fma_f64 v[17:18], v[8:9], v[17:18], -v[2:3]
	v_fma_f64 v[25:26], v[0:1], 0.5, v[4:5]
	v_fma_f64 v[4:5], v[0:1], 0.5, -v[4:5]
	v_fma_f64 v[2:3], -v[15:16], v[6:7], v[23:24]
	v_fma_f64 v[6:7], -v[15:16], v[6:7], v[17:18]
	v_fma_f64 v[0:1], v[8:9], v[15:16], v[25:26]
	v_fma_f64 v[4:5], -v[8:9], v[15:16], v[4:5]
	v_lshlrev_b64 v[8:9], 4, v[164:165]
	ds_write_b128 v209, v[0:3] offset:8960
	ds_write_b128 v10, v[4:7] offset:22400
	v_add_co_u32 v8, s1, s4, v8
	ds_read_b128 v[0:3], v209 offset:9856
	ds_read_b128 v[4:7], v10 offset:21504
	v_add_co_ci_u32_e64 v9, s1, s5, v9, s1
	global_load_dwordx4 v[15:18], v[8:9], off
	s_waitcnt lgkmcnt(0)
	v_add_f64 v[8:9], v[0:1], -v[4:5]
	v_add_f64 v[23:24], v[2:3], v[6:7]
	v_add_f64 v[2:3], v[2:3], -v[6:7]
	v_add_f64 v[0:1], v[0:1], v[4:5]
	v_mul_f64 v[6:7], v[8:9], 0.5
	v_mul_f64 v[8:9], v[23:24], 0.5
	;; [unrolled: 1-line block ×3, first 2 shown]
	s_waitcnt vmcnt(2)
	v_mul_f64 v[4:5], v[6:7], v[13:14]
	v_fma_f64 v[23:24], v[8:9], v[13:14], v[2:3]
	v_fma_f64 v[13:14], v[8:9], v[13:14], -v[2:3]
	v_fma_f64 v[25:26], v[0:1], 0.5, v[4:5]
	v_fma_f64 v[4:5], v[0:1], 0.5, -v[4:5]
	v_fma_f64 v[2:3], -v[11:12], v[6:7], v[23:24]
	v_fma_f64 v[6:7], -v[11:12], v[6:7], v[13:14]
	v_fma_f64 v[0:1], v[8:9], v[11:12], v[25:26]
	v_fma_f64 v[4:5], -v[8:9], v[11:12], v[4:5]
	v_lshlrev_b64 v[8:9], 4, v[146:147]
	v_mov_b32_e32 v146, v155
	ds_write_b128 v209, v[0:3] offset:9856
	ds_write_b128 v10, v[4:7] offset:21504
	v_add_co_u32 v8, s1, s4, v8
	ds_read_b128 v[0:3], v209 offset:10752
	ds_read_b128 v[4:7], v10 offset:20608
	v_add_co_ci_u32_e64 v9, s1, s5, v9, s1
	global_load_dwordx4 v[11:14], v[8:9], off
	s_waitcnt lgkmcnt(0)
	v_add_f64 v[8:9], v[0:1], -v[4:5]
	v_add_f64 v[23:24], v[2:3], v[6:7]
	v_add_f64 v[2:3], v[2:3], -v[6:7]
	v_add_f64 v[0:1], v[0:1], v[4:5]
	v_mul_f64 v[6:7], v[8:9], 0.5
	v_mul_f64 v[8:9], v[23:24], 0.5
	;; [unrolled: 1-line block ×3, first 2 shown]
	s_waitcnt vmcnt(2)
	v_mul_f64 v[4:5], v[6:7], v[21:22]
	v_fma_f64 v[23:24], v[8:9], v[21:22], v[2:3]
	v_fma_f64 v[21:22], v[8:9], v[21:22], -v[2:3]
	v_fma_f64 v[25:26], v[0:1], 0.5, v[4:5]
	v_fma_f64 v[4:5], v[0:1], 0.5, -v[4:5]
	v_fma_f64 v[2:3], -v[19:20], v[6:7], v[23:24]
	v_fma_f64 v[6:7], -v[19:20], v[6:7], v[21:22]
	v_fma_f64 v[0:1], v[8:9], v[19:20], v[25:26]
	v_fma_f64 v[4:5], -v[8:9], v[19:20], v[4:5]
	v_lshlrev_b64 v[8:9], 4, v[145:146]
	v_mov_b32_e32 v145, v155
	ds_write_b128 v209, v[0:3] offset:10752
	ds_write_b128 v10, v[4:7] offset:20608
	v_add_co_u32 v8, s1, s4, v8
	ds_read_b128 v[0:3], v209 offset:11648
	ds_read_b128 v[4:7], v10 offset:19712
	v_add_co_ci_u32_e64 v9, s1, s5, v9, s1
	global_load_dwordx4 v[19:22], v[8:9], off
	s_waitcnt lgkmcnt(0)
	v_add_f64 v[8:9], v[0:1], -v[4:5]
	v_add_f64 v[23:24], v[2:3], v[6:7]
	v_add_f64 v[2:3], v[2:3], -v[6:7]
	v_add_f64 v[0:1], v[0:1], v[4:5]
	v_mul_f64 v[6:7], v[8:9], 0.5
	v_mul_f64 v[8:9], v[23:24], 0.5
	;; [unrolled: 1-line block ×3, first 2 shown]
	s_waitcnt vmcnt(2)
	v_mul_f64 v[4:5], v[6:7], v[17:18]
	v_fma_f64 v[23:24], v[8:9], v[17:18], v[2:3]
	v_fma_f64 v[17:18], v[8:9], v[17:18], -v[2:3]
	v_fma_f64 v[25:26], v[0:1], 0.5, v[4:5]
	v_fma_f64 v[4:5], v[0:1], 0.5, -v[4:5]
	v_fma_f64 v[2:3], -v[15:16], v[6:7], v[23:24]
	v_fma_f64 v[6:7], -v[15:16], v[6:7], v[17:18]
	v_fma_f64 v[0:1], v[8:9], v[15:16], v[25:26]
	v_fma_f64 v[4:5], -v[8:9], v[15:16], v[4:5]
	v_lshlrev_b64 v[8:9], 4, v[144:145]
	ds_write_b128 v209, v[0:3] offset:11648
	ds_write_b128 v10, v[4:7] offset:19712
	v_add_co_u32 v8, s1, s4, v8
	ds_read_b128 v[0:3], v209 offset:12544
	ds_read_b128 v[4:7], v10 offset:18816
	v_add_co_ci_u32_e64 v9, s1, s5, v9, s1
	global_load_dwordx4 v[15:18], v[8:9], off
	s_waitcnt lgkmcnt(0)
	v_add_f64 v[8:9], v[0:1], -v[4:5]
	v_add_f64 v[23:24], v[2:3], v[6:7]
	v_add_f64 v[2:3], v[2:3], -v[6:7]
	v_add_f64 v[0:1], v[0:1], v[4:5]
	v_mul_f64 v[6:7], v[8:9], 0.5
	v_mul_f64 v[8:9], v[23:24], 0.5
	;; [unrolled: 1-line block ×3, first 2 shown]
	s_waitcnt vmcnt(2)
	v_mul_f64 v[4:5], v[6:7], v[13:14]
	v_fma_f64 v[23:24], v[8:9], v[13:14], v[2:3]
	v_fma_f64 v[13:14], v[8:9], v[13:14], -v[2:3]
	v_fma_f64 v[25:26], v[0:1], 0.5, v[4:5]
	v_fma_f64 v[4:5], v[0:1], 0.5, -v[4:5]
	v_fma_f64 v[2:3], -v[11:12], v[6:7], v[23:24]
	v_fma_f64 v[6:7], -v[11:12], v[6:7], v[13:14]
	v_fma_f64 v[0:1], v[8:9], v[11:12], v[25:26]
	v_fma_f64 v[4:5], -v[8:9], v[11:12], v[4:5]
	ds_write_b128 v209, v[0:3] offset:12544
	ds_write_b128 v10, v[4:7] offset:18816
	ds_read_b128 v[0:3], v209 offset:13440
	ds_read_b128 v[4:7], v10 offset:17920
	s_waitcnt lgkmcnt(0)
	v_add_f64 v[8:9], v[0:1], -v[4:5]
	v_add_f64 v[11:12], v[2:3], v[6:7]
	v_add_f64 v[2:3], v[2:3], -v[6:7]
	v_add_f64 v[0:1], v[0:1], v[4:5]
	v_mul_f64 v[6:7], v[8:9], 0.5
	v_mul_f64 v[8:9], v[11:12], 0.5
	;; [unrolled: 1-line block ×3, first 2 shown]
	s_waitcnt vmcnt(1)
	v_mul_f64 v[4:5], v[6:7], v[21:22]
	v_fma_f64 v[11:12], v[8:9], v[21:22], v[2:3]
	v_fma_f64 v[13:14], v[8:9], v[21:22], -v[2:3]
	v_fma_f64 v[21:22], v[0:1], 0.5, v[4:5]
	v_fma_f64 v[4:5], v[0:1], 0.5, -v[4:5]
	v_fma_f64 v[2:3], -v[19:20], v[6:7], v[11:12]
	v_fma_f64 v[6:7], -v[19:20], v[6:7], v[13:14]
	v_fma_f64 v[0:1], v[8:9], v[19:20], v[21:22]
	v_fma_f64 v[4:5], -v[8:9], v[19:20], v[4:5]
	ds_write_b128 v209, v[0:3] offset:13440
	ds_write_b128 v10, v[4:7] offset:17920
	ds_read_b128 v[0:3], v209 offset:14336
	ds_read_b128 v[4:7], v10 offset:17024
	s_waitcnt lgkmcnt(0)
	v_add_f64 v[8:9], v[0:1], -v[4:5]
	v_add_f64 v[11:12], v[2:3], v[6:7]
	v_add_f64 v[2:3], v[2:3], -v[6:7]
	v_add_f64 v[0:1], v[0:1], v[4:5]
	v_mul_f64 v[6:7], v[8:9], 0.5
	v_mul_f64 v[8:9], v[11:12], 0.5
	;; [unrolled: 1-line block ×3, first 2 shown]
	s_waitcnt vmcnt(0)
	v_mul_f64 v[4:5], v[6:7], v[17:18]
	v_fma_f64 v[11:12], v[8:9], v[17:18], v[2:3]
	v_fma_f64 v[13:14], v[8:9], v[17:18], -v[2:3]
	v_fma_f64 v[17:18], v[0:1], 0.5, v[4:5]
	v_fma_f64 v[4:5], v[0:1], 0.5, -v[4:5]
	v_fma_f64 v[2:3], -v[15:16], v[6:7], v[11:12]
	v_fma_f64 v[6:7], -v[15:16], v[6:7], v[13:14]
	v_fma_f64 v[0:1], v[8:9], v[15:16], v[17:18]
	v_fma_f64 v[4:5], -v[8:9], v[15:16], v[4:5]
	ds_write_b128 v209, v[0:3] offset:14336
	ds_write_b128 v10, v[4:7] offset:17024
	s_and_saveexec_b32 s1, s0
	s_cbranch_execz .LBB0_25
; %bb.24:
	v_mov_b32_e32 v97, v155
	v_lshlrev_b64 v[0:1], 4, v[96:97]
	v_add_co_u32 v0, s0, s4, v0
	v_add_co_ci_u32_e64 v1, s0, s5, v1, s0
	global_load_dwordx4 v[0:3], v[0:1], off
	ds_read_b128 v[4:7], v209 offset:15232
	ds_read_b128 v[11:14], v10 offset:16128
	s_waitcnt lgkmcnt(0)
	v_add_f64 v[8:9], v[4:5], -v[11:12]
	v_add_f64 v[15:16], v[6:7], v[13:14]
	v_add_f64 v[6:7], v[6:7], -v[13:14]
	v_add_f64 v[4:5], v[4:5], v[11:12]
	v_mul_f64 v[8:9], v[8:9], 0.5
	v_mul_f64 v[13:14], v[15:16], 0.5
	;; [unrolled: 1-line block ×3, first 2 shown]
	s_waitcnt vmcnt(0)
	v_mul_f64 v[11:12], v[8:9], v[2:3]
	v_fma_f64 v[15:16], v[13:14], v[2:3], v[6:7]
	v_fma_f64 v[2:3], v[13:14], v[2:3], -v[6:7]
	v_fma_f64 v[6:7], v[4:5], 0.5, v[11:12]
	v_fma_f64 v[11:12], v[4:5], 0.5, -v[11:12]
	v_fma_f64 v[4:5], -v[0:1], v[8:9], v[15:16]
	v_fma_f64 v[8:9], -v[0:1], v[8:9], v[2:3]
	v_fma_f64 v[2:3], v[13:14], v[0:1], v[6:7]
	v_fma_f64 v[6:7], -v[13:14], v[0:1], v[11:12]
	ds_write_b128 v209, v[2:5] offset:15232
	ds_write_b128 v10, v[6:9] offset:16128
.LBB0_25:
	s_or_b32 exec_lo, exec_lo, s1
	s_waitcnt lgkmcnt(0)
	s_barrier
	buffer_gl0_inv
	s_and_saveexec_b32 s0, vcc_lo
	s_cbranch_execz .LBB0_28
; %bb.26:
	v_mul_lo_u32 v2, s3, v152
	v_mul_lo_u32 v3, s2, v153
	v_mad_u64_u32 v[0:1], null, s2, v152, 0
	v_lshl_add_u32 v32, v148, 4, 0
	v_mov_b32_e32 v149, 0
	v_lshlrev_b64 v[10:11], 4, v[150:151]
	v_add_nc_u32_e32 v14, 56, v148
	v_add_nc_u32_e32 v16, 0x70, v148
	;; [unrolled: 1-line block ×3, first 2 shown]
	v_add3_u32 v1, v1, v3, v2
	ds_read_b128 v[2:5], v32
	ds_read_b128 v[6:9], v32 offset:896
	v_lshlrev_b64 v[18:19], 4, v[148:149]
	v_mov_b32_e32 v15, v149
	v_mov_b32_e32 v17, v149
	v_lshlrev_b64 v[0:1], 4, v[0:1]
	v_mov_b32_e32 v27, v149
	v_add_nc_u32_e32 v30, 0x188, v148
	v_lshlrev_b64 v[14:15], 4, v[14:15]
	v_lshlrev_b64 v[16:17], 4, v[16:17]
	v_mov_b32_e32 v31, v149
	v_add_co_u32 v0, vcc_lo, s10, v0
	v_add_co_ci_u32_e32 v1, vcc_lo, s11, v1, vcc_lo
	v_lshlrev_b64 v[26:27], 4, v[26:27]
	v_add_co_u32 v0, vcc_lo, v0, v10
	v_add_co_ci_u32_e32 v1, vcc_lo, v1, v11, vcc_lo
	ds_read_b128 v[10:13], v32 offset:1792
	v_add_co_u32 v18, vcc_lo, v0, v18
	v_add_co_ci_u32_e32 v19, vcc_lo, v1, v19, vcc_lo
	s_waitcnt lgkmcnt(2)
	global_store_dwordx4 v[18:19], v[2:5], off
	v_add_co_u32 v2, vcc_lo, v0, v14
	v_add_co_ci_u32_e32 v3, vcc_lo, v1, v15, vcc_lo
	v_add_co_u32 v14, vcc_lo, v0, v16
	v_add_co_ci_u32_e32 v15, vcc_lo, v1, v17, vcc_lo
	v_add_nc_u32_e32 v16, 0xa8, v148
	v_mov_b32_e32 v17, v149
	v_add_nc_u32_e32 v18, 0xe0, v148
	v_mov_b32_e32 v19, v149
	s_waitcnt lgkmcnt(1)
	global_store_dwordx4 v[2:3], v[6:9], off
	ds_read_b128 v[2:5], v32 offset:2688
	s_waitcnt lgkmcnt(1)
	global_store_dwordx4 v[14:15], v[10:13], off
	v_lshlrev_b64 v[14:15], 4, v[16:17]
	v_lshlrev_b64 v[16:17], 4, v[18:19]
	v_add_nc_u32_e32 v18, 0x118, v148
	ds_read_b128 v[6:9], v32 offset:3584
	ds_read_b128 v[10:13], v32 offset:4480
	v_add_co_u32 v22, vcc_lo, v0, v14
	v_lshlrev_b64 v[18:19], 4, v[18:19]
	v_add_co_ci_u32_e32 v23, vcc_lo, v1, v15, vcc_lo
	v_add_co_u32 v24, vcc_lo, v0, v16
	v_add_co_ci_u32_e32 v25, vcc_lo, v1, v17, vcc_lo
	ds_read_b128 v[14:17], v32 offset:5376
	v_add_co_u32 v28, vcc_lo, v0, v18
	v_add_co_ci_u32_e32 v29, vcc_lo, v1, v19, vcc_lo
	ds_read_b128 v[18:21], v32 offset:6272
	s_waitcnt lgkmcnt(4)
	global_store_dwordx4 v[22:23], v[2:5], off
	s_waitcnt lgkmcnt(3)
	global_store_dwordx4 v[24:25], v[6:9], off
	;; [unrolled: 2-line block ×3, first 2 shown]
	v_lshlrev_b64 v[2:3], 4, v[30:31]
	v_add_co_u32 v4, vcc_lo, v0, v26
	v_add_co_ci_u32_e32 v5, vcc_lo, v1, v27, vcc_lo
	v_add_nc_u32_e32 v6, 0x1c0, v148
	v_add_co_u32 v2, vcc_lo, v0, v2
	v_mov_b32_e32 v7, v149
	v_add_co_ci_u32_e32 v3, vcc_lo, v1, v3, vcc_lo
	s_waitcnt lgkmcnt(1)
	global_store_dwordx4 v[4:5], v[14:17], off
	v_add_nc_u32_e32 v10, 0x1f8, v148
	v_mov_b32_e32 v11, v149
	v_lshlrev_b64 v[14:15], 4, v[6:7]
	v_add_nc_u32_e32 v28, 0x268, v148
	s_waitcnt lgkmcnt(0)
	global_store_dwordx4 v[2:3], v[18:21], off
	ds_read_b128 v[2:5], v32 offset:7168
	ds_read_b128 v[6:9], v32 offset:8064
	v_add_nc_u32_e32 v18, 0x230, v148
	v_mov_b32_e32 v19, v149
	v_lshlrev_b64 v[16:17], 4, v[10:11]
	ds_read_b128 v[10:13], v32 offset:8960
	v_add_co_u32 v22, vcc_lo, v0, v14
	v_add_co_ci_u32_e32 v23, vcc_lo, v1, v15, vcc_lo
	v_lshlrev_b64 v[14:15], 4, v[18:19]
	v_add_co_u32 v24, vcc_lo, v0, v16
	v_add_co_ci_u32_e32 v25, vcc_lo, v1, v17, vcc_lo
	v_mov_b32_e32 v29, v149
	v_add_co_u32 v26, vcc_lo, v0, v14
	v_add_co_ci_u32_e32 v27, vcc_lo, v1, v15, vcc_lo
	ds_read_b128 v[14:17], v32 offset:9856
	ds_read_b128 v[18:21], v32 offset:10752
	v_add_nc_u32_e32 v30, 0x2a0, v148
	v_lshlrev_b64 v[28:29], 4, v[28:29]
	s_waitcnt lgkmcnt(4)
	global_store_dwordx4 v[22:23], v[2:5], off
	s_waitcnt lgkmcnt(3)
	global_store_dwordx4 v[24:25], v[6:9], off
	;; [unrolled: 2-line block ×3, first 2 shown]
	v_add_nc_u32_e32 v8, 0x2d8, v148
	v_mov_b32_e32 v9, v149
	v_lshlrev_b64 v[2:3], 4, v[30:31]
	v_add_nc_u32_e32 v10, 0x310, v148
	v_add_co_u32 v4, vcc_lo, v0, v28
	v_add_co_ci_u32_e32 v5, vcc_lo, v1, v29, vcc_lo
	v_add_co_u32 v6, vcc_lo, v0, v2
	v_add_co_ci_u32_e32 v7, vcc_lo, v1, v3, vcc_lo
	v_mov_b32_e32 v11, v149
	v_add_nc_u32_e32 v26, 0x380, v148
	v_mov_b32_e32 v27, v149
	s_waitcnt lgkmcnt(1)
	global_store_dwordx4 v[4:5], v[14:17], off
	s_waitcnt lgkmcnt(0)
	global_store_dwordx4 v[6:7], v[18:21], off
	v_lshlrev_b64 v[14:15], 4, v[8:9]
	ds_read_b128 v[2:5], v32 offset:11648
	v_lshlrev_b64 v[16:17], 4, v[10:11]
	v_add_nc_u32_e32 v18, 0x348, v148
	v_mov_b32_e32 v19, v149
	ds_read_b128 v[6:9], v32 offset:12544
	ds_read_b128 v[10:13], v32 offset:13440
	v_add_co_u32 v22, vcc_lo, v0, v14
	v_add_co_ci_u32_e32 v23, vcc_lo, v1, v15, vcc_lo
	v_lshlrev_b64 v[18:19], 4, v[18:19]
	v_add_co_u32 v24, vcc_lo, v0, v16
	v_add_co_ci_u32_e32 v25, vcc_lo, v1, v17, vcc_lo
	ds_read_b128 v[14:17], v32 offset:14336
	v_add_co_u32 v28, vcc_lo, v0, v18
	v_add_co_ci_u32_e32 v29, vcc_lo, v1, v19, vcc_lo
	ds_read_b128 v[18:21], v32 offset:15232
	v_add_nc_u32_e32 v30, 0x3b8, v148
	v_lshlrev_b64 v[26:27], 4, v[26:27]
	s_waitcnt lgkmcnt(4)
	global_store_dwordx4 v[22:23], v[2:5], off
	s_waitcnt lgkmcnt(3)
	global_store_dwordx4 v[24:25], v[6:9], off
	;; [unrolled: 2-line block ×3, first 2 shown]
	v_lshlrev_b64 v[2:3], 4, v[30:31]
	v_add_nc_u32_e32 v6, 0x3f0, v148
	v_add_co_u32 v4, vcc_lo, v0, v26
	v_add_co_ci_u32_e32 v5, vcc_lo, v1, v27, vcc_lo
	v_add_co_u32 v2, vcc_lo, v0, v2
	v_mov_b32_e32 v7, v149
	v_add_co_ci_u32_e32 v3, vcc_lo, v1, v3, vcc_lo
	s_waitcnt lgkmcnt(1)
	global_store_dwordx4 v[4:5], v[14:17], off
	v_add_nc_u32_e32 v10, 0x428, v148
	v_mov_b32_e32 v11, v149
	v_lshlrev_b64 v[14:15], 4, v[6:7]
	s_waitcnt lgkmcnt(0)
	global_store_dwordx4 v[2:3], v[18:21], off
	ds_read_b128 v[2:5], v32 offset:16128
	ds_read_b128 v[6:9], v32 offset:17024
	v_add_nc_u32_e32 v18, 0x460, v148
	v_mov_b32_e32 v19, v149
	v_lshlrev_b64 v[16:17], 4, v[10:11]
	ds_read_b128 v[10:13], v32 offset:17920
	v_add_co_u32 v22, vcc_lo, v0, v14
	v_add_co_ci_u32_e32 v23, vcc_lo, v1, v15, vcc_lo
	v_lshlrev_b64 v[14:15], 4, v[18:19]
	v_add_co_u32 v24, vcc_lo, v0, v16
	v_add_co_ci_u32_e32 v25, vcc_lo, v1, v17, vcc_lo
	v_add_nc_u32_e32 v28, 0x498, v148
	v_add_co_u32 v26, vcc_lo, v0, v14
	v_mov_b32_e32 v29, v149
	v_add_co_ci_u32_e32 v27, vcc_lo, v1, v15, vcc_lo
	ds_read_b128 v[14:17], v32 offset:18816
	ds_read_b128 v[18:21], v32 offset:19712
	v_add_nc_u32_e32 v30, 0x4d0, v148
	v_lshlrev_b64 v[28:29], 4, v[28:29]
	s_waitcnt lgkmcnt(4)
	global_store_dwordx4 v[22:23], v[2:5], off
	s_waitcnt lgkmcnt(3)
	global_store_dwordx4 v[24:25], v[6:9], off
	;; [unrolled: 2-line block ×3, first 2 shown]
	v_add_nc_u32_e32 v8, 0x508, v148
	v_mov_b32_e32 v9, v149
	v_lshlrev_b64 v[2:3], 4, v[30:31]
	v_add_nc_u32_e32 v10, 0x540, v148
	v_add_co_u32 v4, vcc_lo, v0, v28
	v_add_co_ci_u32_e32 v5, vcc_lo, v1, v29, vcc_lo
	v_add_co_u32 v6, vcc_lo, v0, v2
	v_add_co_ci_u32_e32 v7, vcc_lo, v1, v3, vcc_lo
	v_mov_b32_e32 v11, v149
	v_add_nc_u32_e32 v26, 0x5b0, v148
	v_mov_b32_e32 v27, v149
	s_waitcnt lgkmcnt(1)
	global_store_dwordx4 v[4:5], v[14:17], off
	s_waitcnt lgkmcnt(0)
	global_store_dwordx4 v[6:7], v[18:21], off
	v_lshlrev_b64 v[14:15], 4, v[8:9]
	ds_read_b128 v[2:5], v32 offset:20608
	v_lshlrev_b64 v[16:17], 4, v[10:11]
	v_add_nc_u32_e32 v18, 0x578, v148
	v_mov_b32_e32 v19, v149
	ds_read_b128 v[6:9], v32 offset:21504
	ds_read_b128 v[10:13], v32 offset:22400
	v_add_co_u32 v22, vcc_lo, v0, v14
	v_add_co_ci_u32_e32 v23, vcc_lo, v1, v15, vcc_lo
	v_lshlrev_b64 v[18:19], 4, v[18:19]
	v_add_co_u32 v24, vcc_lo, v0, v16
	v_add_co_ci_u32_e32 v25, vcc_lo, v1, v17, vcc_lo
	ds_read_b128 v[14:17], v32 offset:23296
	v_add_co_u32 v28, vcc_lo, v0, v18
	v_add_co_ci_u32_e32 v29, vcc_lo, v1, v19, vcc_lo
	ds_read_b128 v[18:21], v32 offset:24192
	v_add_nc_u32_e32 v30, 0x5e8, v148
	v_lshlrev_b64 v[26:27], 4, v[26:27]
	s_waitcnt lgkmcnt(4)
	global_store_dwordx4 v[22:23], v[2:5], off
	s_waitcnt lgkmcnt(3)
	global_store_dwordx4 v[24:25], v[6:9], off
	;; [unrolled: 2-line block ×3, first 2 shown]
	v_lshlrev_b64 v[2:3], 4, v[30:31]
	v_add_nc_u32_e32 v6, 0x620, v148
	v_add_co_u32 v4, vcc_lo, v0, v26
	v_add_co_ci_u32_e32 v5, vcc_lo, v1, v27, vcc_lo
	v_add_co_u32 v2, vcc_lo, v0, v2
	v_add_co_ci_u32_e32 v3, vcc_lo, v1, v3, vcc_lo
	v_mov_b32_e32 v7, v149
	s_waitcnt lgkmcnt(1)
	global_store_dwordx4 v[4:5], v[14:17], off
	v_add_nc_u32_e32 v10, 0x658, v148
	v_mov_b32_e32 v11, v149
	s_waitcnt lgkmcnt(0)
	global_store_dwordx4 v[2:3], v[18:21], off
	v_lshlrev_b64 v[14:15], 4, v[6:7]
	ds_read_b128 v[2:5], v32 offset:25088
	ds_read_b128 v[6:9], v32 offset:25984
	v_add_nc_u32_e32 v18, 0x690, v148
	v_lshlrev_b64 v[16:17], 4, v[10:11]
	ds_read_b128 v[10:13], v32 offset:26880
	v_mov_b32_e32 v19, v149
	v_add_co_u32 v14, vcc_lo, v0, v14
	v_add_co_ci_u32_e32 v15, vcc_lo, v1, v15, vcc_lo
	v_lshlrev_b64 v[18:19], 4, v[18:19]
	v_add_co_u32 v16, vcc_lo, v0, v16
	v_add_nc_u32_e32 v20, 0x6c8, v148
	v_mov_b32_e32 v21, v149
	v_add_co_ci_u32_e32 v17, vcc_lo, v1, v17, vcc_lo
	v_add_co_u32 v18, vcc_lo, v0, v18
	s_waitcnt lgkmcnt(2)
	global_store_dwordx4 v[14:15], v[2:5], off
	s_waitcnt lgkmcnt(1)
	global_store_dwordx4 v[16:17], v[6:9], off
	v_lshlrev_b64 v[6:7], 4, v[20:21]
	v_add_co_ci_u32_e32 v19, vcc_lo, v1, v19, vcc_lo
	v_add_nc_u32_e32 v8, 0x700, v148
	v_mov_b32_e32 v9, v149
	v_add_nc_u32_e32 v14, 0x738, v148
	s_waitcnt lgkmcnt(0)
	global_store_dwordx4 v[18:19], v[10:13], off
	v_mov_b32_e32 v15, v149
	v_add_co_u32 v18, vcc_lo, v0, v6
	ds_read_b128 v[2:5], v32 offset:27776
	v_add_co_ci_u32_e32 v19, vcc_lo, v1, v7, vcc_lo
	v_lshlrev_b64 v[20:21], 4, v[8:9]
	ds_read_b128 v[6:9], v32 offset:28672
	ds_read_b128 v[10:13], v32 offset:29568
	v_add_nc_u32_e32 v24, 0x770, v148
	v_mov_b32_e32 v25, v149
	v_lshlrev_b64 v[22:23], 4, v[14:15]
	ds_read_b128 v[14:17], v32 offset:30464
	v_add_co_u32 v20, vcc_lo, v0, v20
	v_lshlrev_b64 v[24:25], 4, v[24:25]
	v_add_co_ci_u32_e32 v21, vcc_lo, v1, v21, vcc_lo
	v_add_co_u32 v22, vcc_lo, v0, v22
	v_add_co_ci_u32_e32 v23, vcc_lo, v1, v23, vcc_lo
	v_add_co_u32 v24, vcc_lo, v0, v24
	v_add_co_ci_u32_e32 v25, vcc_lo, v1, v25, vcc_lo
	v_cmp_eq_u32_e32 vcc_lo, 55, v148
	s_waitcnt lgkmcnt(3)
	global_store_dwordx4 v[18:19], v[2:5], off
	s_waitcnt lgkmcnt(2)
	global_store_dwordx4 v[20:21], v[6:9], off
	;; [unrolled: 2-line block ×4, first 2 shown]
	s_and_b32 exec_lo, exec_lo, vcc_lo
	s_cbranch_execz .LBB0_28
; %bb.27:
	ds_read_b128 v[2:5], v149 offset:31360
	v_add_co_u32 v0, vcc_lo, 0x7800, v0
	v_add_co_ci_u32_e32 v1, vcc_lo, 0, v1, vcc_lo
	s_waitcnt lgkmcnt(0)
	global_store_dwordx4 v[0:1], v[2:5], off offset:640
.LBB0_28:
	s_endpgm
	.section	.rodata,"a",@progbits
	.p2align	6, 0x0
	.amdhsa_kernel fft_rtc_fwd_len1960_factors_4_7_2_7_5_wgs_56_tpt_56_halfLds_dp_op_CI_CI_unitstride_sbrr_R2C_dirReg
		.amdhsa_group_segment_fixed_size 0
		.amdhsa_private_segment_fixed_size 40
		.amdhsa_kernarg_size 104
		.amdhsa_user_sgpr_count 6
		.amdhsa_user_sgpr_private_segment_buffer 1
		.amdhsa_user_sgpr_dispatch_ptr 0
		.amdhsa_user_sgpr_queue_ptr 0
		.amdhsa_user_sgpr_kernarg_segment_ptr 1
		.amdhsa_user_sgpr_dispatch_id 0
		.amdhsa_user_sgpr_flat_scratch_init 0
		.amdhsa_user_sgpr_private_segment_size 0
		.amdhsa_wavefront_size32 1
		.amdhsa_uses_dynamic_stack 0
		.amdhsa_system_sgpr_private_segment_wavefront_offset 1
		.amdhsa_system_sgpr_workgroup_id_x 1
		.amdhsa_system_sgpr_workgroup_id_y 0
		.amdhsa_system_sgpr_workgroup_id_z 0
		.amdhsa_system_sgpr_workgroup_info 0
		.amdhsa_system_vgpr_workitem_id 0
		.amdhsa_next_free_vgpr 256
		.amdhsa_next_free_sgpr 32
		.amdhsa_reserve_vcc 1
		.amdhsa_reserve_flat_scratch 0
		.amdhsa_float_round_mode_32 0
		.amdhsa_float_round_mode_16_64 0
		.amdhsa_float_denorm_mode_32 3
		.amdhsa_float_denorm_mode_16_64 3
		.amdhsa_dx10_clamp 1
		.amdhsa_ieee_mode 1
		.amdhsa_fp16_overflow 0
		.amdhsa_workgroup_processor_mode 1
		.amdhsa_memory_ordered 1
		.amdhsa_forward_progress 0
		.amdhsa_shared_vgpr_count 0
		.amdhsa_exception_fp_ieee_invalid_op 0
		.amdhsa_exception_fp_denorm_src 0
		.amdhsa_exception_fp_ieee_div_zero 0
		.amdhsa_exception_fp_ieee_overflow 0
		.amdhsa_exception_fp_ieee_underflow 0
		.amdhsa_exception_fp_ieee_inexact 0
		.amdhsa_exception_int_div_zero 0
	.end_amdhsa_kernel
	.text
.Lfunc_end0:
	.size	fft_rtc_fwd_len1960_factors_4_7_2_7_5_wgs_56_tpt_56_halfLds_dp_op_CI_CI_unitstride_sbrr_R2C_dirReg, .Lfunc_end0-fft_rtc_fwd_len1960_factors_4_7_2_7_5_wgs_56_tpt_56_halfLds_dp_op_CI_CI_unitstride_sbrr_R2C_dirReg
                                        ; -- End function
	.section	.AMDGPU.csdata,"",@progbits
; Kernel info:
; codeLenInByte = 29832
; NumSgprs: 34
; NumVgprs: 256
; ScratchSize: 40
; MemoryBound: 0
; FloatMode: 240
; IeeeMode: 1
; LDSByteSize: 0 bytes/workgroup (compile time only)
; SGPRBlocks: 4
; VGPRBlocks: 31
; NumSGPRsForWavesPerEU: 34
; NumVGPRsForWavesPerEU: 256
; Occupancy: 4
; WaveLimiterHint : 1
; COMPUTE_PGM_RSRC2:SCRATCH_EN: 1
; COMPUTE_PGM_RSRC2:USER_SGPR: 6
; COMPUTE_PGM_RSRC2:TRAP_HANDLER: 0
; COMPUTE_PGM_RSRC2:TGID_X_EN: 1
; COMPUTE_PGM_RSRC2:TGID_Y_EN: 0
; COMPUTE_PGM_RSRC2:TGID_Z_EN: 0
; COMPUTE_PGM_RSRC2:TIDIG_COMP_CNT: 0
	.text
	.p2alignl 6, 3214868480
	.fill 48, 4, 3214868480
	.type	__hip_cuid_40169c8d80c00976,@object ; @__hip_cuid_40169c8d80c00976
	.section	.bss,"aw",@nobits
	.globl	__hip_cuid_40169c8d80c00976
__hip_cuid_40169c8d80c00976:
	.byte	0                               ; 0x0
	.size	__hip_cuid_40169c8d80c00976, 1

	.ident	"AMD clang version 19.0.0git (https://github.com/RadeonOpenCompute/llvm-project roc-6.4.0 25133 c7fe45cf4b819c5991fe208aaa96edf142730f1d)"
	.section	".note.GNU-stack","",@progbits
	.addrsig
	.addrsig_sym __hip_cuid_40169c8d80c00976
	.amdgpu_metadata
---
amdhsa.kernels:
  - .args:
      - .actual_access:  read_only
        .address_space:  global
        .offset:         0
        .size:           8
        .value_kind:     global_buffer
      - .offset:         8
        .size:           8
        .value_kind:     by_value
      - .actual_access:  read_only
        .address_space:  global
        .offset:         16
        .size:           8
        .value_kind:     global_buffer
      - .actual_access:  read_only
        .address_space:  global
        .offset:         24
        .size:           8
        .value_kind:     global_buffer
      - .actual_access:  read_only
        .address_space:  global
        .offset:         32
        .size:           8
        .value_kind:     global_buffer
      - .offset:         40
        .size:           8
        .value_kind:     by_value
      - .actual_access:  read_only
        .address_space:  global
        .offset:         48
        .size:           8
        .value_kind:     global_buffer
      - .actual_access:  read_only
        .address_space:  global
        .offset:         56
        .size:           8
        .value_kind:     global_buffer
      - .offset:         64
        .size:           4
        .value_kind:     by_value
      - .actual_access:  read_only
        .address_space:  global
        .offset:         72
        .size:           8
        .value_kind:     global_buffer
      - .actual_access:  read_only
        .address_space:  global
        .offset:         80
        .size:           8
        .value_kind:     global_buffer
      - .actual_access:  read_only
        .address_space:  global
        .offset:         88
        .size:           8
        .value_kind:     global_buffer
      - .actual_access:  write_only
        .address_space:  global
        .offset:         96
        .size:           8
        .value_kind:     global_buffer
    .group_segment_fixed_size: 0
    .kernarg_segment_align: 8
    .kernarg_segment_size: 104
    .language:       OpenCL C
    .language_version:
      - 2
      - 0
    .max_flat_workgroup_size: 56
    .name:           fft_rtc_fwd_len1960_factors_4_7_2_7_5_wgs_56_tpt_56_halfLds_dp_op_CI_CI_unitstride_sbrr_R2C_dirReg
    .private_segment_fixed_size: 40
    .sgpr_count:     34
    .sgpr_spill_count: 0
    .symbol:         fft_rtc_fwd_len1960_factors_4_7_2_7_5_wgs_56_tpt_56_halfLds_dp_op_CI_CI_unitstride_sbrr_R2C_dirReg.kd
    .uniform_work_group_size: 1
    .uses_dynamic_stack: false
    .vgpr_count:     256
    .vgpr_spill_count: 9
    .wavefront_size: 32
    .workgroup_processor_mode: 1
amdhsa.target:   amdgcn-amd-amdhsa--gfx1030
amdhsa.version:
  - 1
  - 2
...

	.end_amdgpu_metadata
